;; amdgpu-corpus repo=LLNL/RAJAPerf kind=compiled arch=gfx906 opt=O3
	.amdgcn_target "amdgcn-amd-amdhsa--gfx906"
	.amdhsa_code_object_version 6
	.section	.text._ZN8rajaperf4apps16intsc_hexhex_hipILm64EEEvPdS2_mS2_,"axG",@progbits,_ZN8rajaperf4apps16intsc_hexhex_hipILm64EEEvPdS2_mS2_,comdat
	.protected	_ZN8rajaperf4apps16intsc_hexhex_hipILm64EEEvPdS2_mS2_ ; -- Begin function _ZN8rajaperf4apps16intsc_hexhex_hipILm64EEEvPdS2_mS2_
	.globl	_ZN8rajaperf4apps16intsc_hexhex_hipILm64EEEvPdS2_mS2_
	.p2align	8
	.type	_ZN8rajaperf4apps16intsc_hexhex_hipILm64EEEvPdS2_mS2_,@function
_ZN8rajaperf4apps16intsc_hexhex_hipILm64EEEvPdS2_mS2_: ; @_ZN8rajaperf4apps16intsc_hexhex_hipILm64EEEvPdS2_mS2_
; %bb.0:
	s_add_u32 s0, s0, s7
	s_mov_b32 s7, 0
	s_addc_u32 s1, s1, 0
	s_lshl_b64 s[60:61], s[6:7], 6
	v_or_b32_e32 v5, s60, v0
	s_mov_b32 s7, 0x8e38e38f
	v_mul_hi_u32 v1, v5, s7
	v_mov_b32_e32 v2, 0
	s_lshr_b32 s8, s6, 26
	v_mov_b32_e32 v3, 0x8e38e38f
	v_mad_u64_u32 v[3:4], s[6:7], s8, v3, v[1:2]
	s_mov_b32 s6, 0x38e38e3
	s_load_dwordx8 s[52:59], s[4:5], 0x0
	v_mov_b32_e32 v1, v3
	v_mad_u64_u32 v[6:7], s[6:7], v5, s6, v[1:2]
	v_mov_b32_e32 v1, 0x38e38e3
	v_mov_b32_e32 v19, 0
	v_add_co_u32_e32 v3, vcc, v4, v7
	v_addc_co_u32_e64 v4, s[4:5], 0, 0, vcc
	v_mad_u64_u32 v[57:58], s[4:5], s8, v1, v[3:4]
	v_mov_b32_e32 v21, 0
	v_mov_b32_e32 v17, 0
	s_waitcnt lgkmcnt(0)
	v_cmp_gt_u64_e32 vcc, s[56:57], v[57:58]
	v_mov_b32_e32 v23, 0
	v_mov_b32_e32 v20, 0
	;; [unrolled: 1-line block ×6, first 2 shown]
	s_and_saveexec_b64 s[62:63], vcc
	s_cbranch_execz .LBB0_126
; %bb.1:
	s_mov_b32 s4, 0xaaaaaaab
	v_mul_hi_u32 v1, v5, s4
	s_mov_b32 s6, 0x2aaaaaaa
                                        ; implicit-def: $sgpr38_sgpr39
	v_mad_u64_u32 v[3:4], s[4:5], v6, s4, v[1:2]
	v_mov_b32_e32 v1, v3
	v_mad_u64_u32 v[7:8], s[4:5], v5, s6, v[1:2]
	v_add_co_u32_e32 v3, vcc, v4, v8
	v_addc_co_u32_e64 v4, s[4:5], 0, 0, vcc
	v_mad_u64_u32 v[3:4], s[4:5], v6, s6, v[3:4]
	s_getpc_b64 s[6:7]
	s_add_u32 s6, s6, __const._ZN8rajaperf14hex_intsc_subzEPKdS1_iiRdS2_S2_S2_.vert_cyc@rel32@lo+4
	s_addc_u32 s7, s7, __const._ZN8rajaperf14hex_intsc_subzEPKdS1_iiRdS2_S2_S2_.vert_cyc@rel32@hi+12
	v_mov_b32_e32 v10, s7
	v_mad_u64_u32 v[7:8], s[4:5], v3, 6, 0
	v_mov_b32_e32 v1, v8
	v_mad_u64_u32 v[8:9], s[4:5], v4, 6, v[1:2]
	v_sub_co_u32_e32 v5, vcc, v5, v7
	v_subb_co_u32_e32 v6, vcc, v6, v8, vcc
	v_lshlrev_b64 v[7:8], 2, v[5:6]
	v_cmp_gt_u64_e32 vcc, 5, v[5:6]
	v_add_co_u32_e64 v5, s[4:5], s6, v7
	v_addc_co_u32_e64 v6, s[4:5], v10, v8, s[4:5]
	global_load_dword v5, v[5:6], off
	v_not_b32_e32 v6, 19
	v_cndmask_b32_e64 v6, v6, 4, vcc
	v_cndmask_b32_e64 v1, -1, 0, vcc
	v_add_co_u32_e32 v6, vcc, s6, v6
	v_addc_co_u32_e32 v1, vcc, v10, v1, vcc
	v_add_co_u32_e32 v6, vcc, v6, v7
	v_addc_co_u32_e32 v7, vcc, v1, v8, vcc
	global_load_dword v8, v[6:7], off
	v_mov_b32_e32 v9, s54
	v_mov_b32_e32 v10, s55
	s_movk_i32 s4, 0xc0
	v_mul_lo_u32 v7, v58, s4
	v_mad_u64_u32 v[10:11], s[6:7], v57, s4, v[9:10]
	s_mov_b32 s5, 0x55555556
	v_mul_hi_u32 v1, v3, s5
	v_add_u32_e32 v11, v7, v11
	global_load_dwordx4 v[52:55], v[10:11], off offset:120
	global_load_dwordx2 v[77:78], v[10:11], off
	global_load_dwordx4 v[44:47], v[10:11], off offset:56
	v_mad_u64_u32 v[18:19], s[6:7], v4, s5, v[1:2]
	s_mov_b32 s5, 0x15555555
	v_mov_b32_e32 v1, v18
	v_mad_u64_u32 v[20:21], s[6:7], v3, s5, v[1:2]
	s_waitcnt vmcnt(4)
	v_ashrrev_i32_e32 v6, 31, v5
	v_lshlrev_b64 v[5:6], 3, v[5:6]
	v_add_co_u32_e32 v5, vcc, v10, v5
	v_addc_co_u32_e32 v6, vcc, v11, v6, vcc
	global_load_dwordx2 v[12:13], v[5:6], off
	s_waitcnt vmcnt(4)
	v_ashrrev_i32_e32 v9, 31, v8
	v_lshlrev_b64 v[8:9], 3, v[8:9]
	v_add_co_u32_e32 v8, vcc, v10, v8
	v_addc_co_u32_e32 v9, vcc, v11, v9, vcc
	global_load_dwordx2 v[14:15], v[8:9], off offset:128
	global_load_dwordx2 v[16:17], v[8:9], off offset:64
	s_waitcnt vmcnt(3)
	v_add_f64 v[59:60], v[52:53], -v[46:47]
	global_load_dwordx2 v[10:11], v[10:11], off offset:184
	v_add_f64 v[69:70], v[44:45], -v[77:78]
	global_load_dwordx2 v[8:9], v[8:9], off
	s_nop 0
	global_load_dwordx2 v[22:23], v[5:6], off offset:64
	global_load_dwordx2 v[24:25], v[5:6], off offset:128
	v_add_co_u32_e32 v5, vcc, v19, v21
	v_addc_co_u32_e64 v6, s[6:7], 0, 0, vcc
	v_mad_u64_u32 v[5:6], s[6:7], v4, s5, v[5:6]
	s_getpc_b64 s[6:7]
	s_add_u32 s6, s6, __const._ZN8rajaperf14hex_intsc_subzEPKdS1_iiRdS2_S2_S2_.cyc_nod@rel32@lo+8
	s_addc_u32 s7, s7, __const._ZN8rajaperf14hex_intsc_subzEPKdS1_iiRdS2_S2_S2_.cyc_nod@rel32@hi+16
	v_mov_b32_e32 v20, s7
	v_mad_u64_u32 v[18:19], s[10:11], v5, 12, 0
	s_getpc_b64 s[8:9]
	s_add_u32 s8, s8, __const._ZN8rajaperf14hex_intsc_subzEPKdS1_iiRdS2_S2_S2_.cyc_nod@rel32@lo+48
	s_addc_u32 s9, s9, __const._ZN8rajaperf14hex_intsc_subzEPKdS1_iiRdS2_S2_S2_.cyc_nod@rel32@hi+56
	v_mov_b32_e32 v21, s9
	v_mov_b32_e32 v1, v19
	v_mad_u64_u32 v[5:6], s[12:13], v6, 12, v[1:2]
	v_sub_co_u32_e32 v3, vcc, v3, v18
	v_subb_co_u32_e32 v4, vcc, v4, v5, vcc
	v_lshlrev_b32_e32 v1, 2, v3
	v_add_co_u32_e32 v18, vcc, s6, v1
	v_addc_co_u32_e32 v5, vcc, 0, v20, vcc
	v_sub_co_u32_e32 v1, vcc, s8, v1
	v_subbrev_co_u32_e32 v19, vcc, 0, v21, vcc
	v_cmp_gt_u64_e32 vcc, 6, v[3:4]
	v_sub_u32_e32 v6, 12, v3
	v_cndmask_b32_e32 v5, v19, v5, vcc
	v_cndmask_b32_e32 v4, v1, v18, vcc
	global_load_dword v18, v[4:5], off
	v_cndmask_b32_e32 v1, v6, v3, vcc
	s_getpc_b64 s[10:11]
	s_add_u32 s10, s10, __const._ZN8rajaperf14hex_intsc_subzEPKdS1_iiRdS2_S2_S2_.cyc_nod@rel32@lo+4
	s_addc_u32 s11, s11, __const._ZN8rajaperf14hex_intsc_subzEPKdS1_iiRdS2_S2_S2_.cyc_nod@rel32@hi+12
	v_lshlrev_b32_e32 v1, 2, v1
	global_load_dword v20, v1, s[10:11]
	v_mov_b32_e32 v49, v47
	v_mov_b32_e32 v48, v46
	s_mov_b64 s[12:13], 0
	s_waitcnt vmcnt(8)
	v_add_f64 v[63:64], v[12:13], -v[77:78]
	v_mul_f64 v[3:4], v[63:64], v[59:60]
	s_waitcnt vmcnt(7)
	v_add_f64 v[50:51], v[14:15], -v[54:55]
	s_waitcnt vmcnt(6)
	v_add_f64 v[61:62], v[16:17], -v[46:47]
	;; [unrolled: 2-line block ×4, first 2 shown]
	v_mul_f64 v[8:9], v[50:51], v[3:4]
	v_mul_f64 v[5:6], v[63:64], v[61:62]
	s_waitcnt vmcnt(2)
	v_add_f64 v[67:68], v[24:25], -v[54:55]
	v_add_f64 v[71:72], v[22:23], -v[46:47]
	v_mul_f64 v[40:41], v[63:64], v[50:51]
	v_mul_f64 v[10:11], v[65:66], v[59:60]
	v_fma_f64 v[8:9], v[5:6], v[52:53], -v[8:9]
	v_mul_f64 v[5:6], v[71:72], v[65:66]
	v_mul_f64 v[12:13], v[71:72], v[69:70]
	v_fma_f64 v[40:41], v[67:68], v[65:66], -v[40:41]
	v_mul_f64 v[44:45], v[71:72], v[52:53]
	v_fma_f64 v[8:9], v[67:68], v[10:11], v[8:9]
	v_mov_b32_e32 v10, s52
	v_mov_b32_e32 v11, s53
	v_mad_u64_u32 v[16:17], s[4:5], v57, s4, v[10:11]
	v_cndmask_b32_e64 v11, 56, 0, vcc
	s_mov_b32 s4, 0xe48e0530
	v_add_u32_e32 v1, v7, v17
	v_fma_f64 v[14:15], -v[5:6], v[52:53], v[8:9]
	v_mul_f64 v[7:8], v[61:62], v[69:70]
	s_mov_b32 s5, 0x2b2bff2e
	s_waitcnt vmcnt(1)
	v_ashrrev_i32_e32 v19, 31, v18
	v_fma_f64 v[9:10], v[50:51], v[12:13], v[14:15]
	v_add_co_u32_e32 v13, vcc, v16, v11
	v_lshlrev_b64 v[11:12], 3, v[18:19]
	v_addc_co_u32_e32 v14, vcc, 0, v1, vcc
	s_waitcnt vmcnt(0)
	v_ashrrev_i32_e32 v21, 31, v20
	v_add_co_u32_e32 v19, vcc, v16, v11
	v_lshlrev_b64 v[17:18], 3, v[20:21]
	v_addc_co_u32_e32 v20, vcc, v1, v12, vcc
	global_load_dwordx2 v[22:23], v[13:14], off offset:64
	global_load_dwordx2 v[24:25], v[19:20], off offset:64
	v_fma_f64 v[73:74], -v[67:68], v[7:8], v[9:10]
	v_add_co_u32_e32 v15, vcc, v16, v17
	v_addc_co_u32_e32 v16, vcc, v1, v18, vcc
	global_load_dwordx2 v[17:18], v[15:16], off offset:64
	global_load_dwordx2 v[11:12], v[13:14], off offset:128
	global_load_dwordx2 v[28:29], v[15:16], off
	global_load_dwordx2 v[30:31], v[13:14], off
	;; [unrolled: 1-line block ×3, first 2 shown]
	v_fma_f64 v[9:10], v[73:74], v[73:74], s[4:5]
	v_mov_b32_e32 v1, 1
	v_div_scale_f64 v[26:27], s[4:5], v[9:10], v[9:10], v[73:74]
	v_div_scale_f64 v[36:37], vcc, v[73:74], v[9:10], v[73:74]
	v_rcp_f64_e32 v[13:14], v[26:27]
	v_fma_f64 v[34:35], -v[26:27], v[13:14], 1.0
	v_fma_f64 v[34:35], v[13:14], v[34:35], v[13:14]
	global_load_dwordx2 v[13:14], v[15:16], off offset:128
	v_fma_f64 v[38:39], -v[26:27], v[34:35], 1.0
	global_load_dwordx2 v[19:20], v[19:20], off offset:128
	v_fma_f64 v[15:16], v[34:35], v[38:39], v[34:35]
	v_mul_f64 v[34:35], v[67:68], v[69:70]
	v_mul_f64 v[38:39], v[65:66], v[52:53]
	s_waitcnt vmcnt(8)
	v_add_f64 v[21:22], v[22:23], -v[46:47]
	s_waitcnt vmcnt(7)
	v_add_f64 v[23:24], v[24:25], -v[46:47]
	buffer_store_dword v46, off, s[0:3], 0 offset:272 ; 4-byte Folded Spill
	s_nop 0
	buffer_store_dword v47, off, s[0:3], 0 offset:276 ; 4-byte Folded Spill
	buffer_store_dword v48, off, s[0:3], 0 offset:280 ; 4-byte Folded Spill
	;; [unrolled: 1-line block ×3, first 2 shown]
	v_mul_f64 v[42:43], v[36:37], v[15:16]
	v_fma_f64 v[34:35], v[63:64], v[52:53], -v[34:35]
	v_fma_f64 v[38:39], v[50:51], v[69:70], -v[38:39]
	s_waitcnt vmcnt(9)
	v_add_f64 v[11:12], v[11:12], -v[54:55]
	s_waitcnt vmcnt(7)
	v_add_f64 v[30:31], v[30:31], -v[77:78]
	;; [unrolled: 2-line block ×3, first 2 shown]
	v_fma_f64 v[26:27], -v[26:27], v[42:43], v[36:37]
	v_mul_f64 v[36:37], v[50:51], v[59:60]
	v_mul_f64 v[48:49], v[21:22], v[38:39]
	v_div_fmas_f64 v[15:16], v[26:27], v[15:16], v[42:43]
	v_mul_f64 v[25:26], v[23:24], v[38:39]
	v_mul_f64 v[42:43], v[23:24], v[34:35]
	;; [unrolled: 1-line block ×3, first 2 shown]
	v_add_f64 v[27:28], v[28:29], -v[77:78]
	s_waitcnt vmcnt(5)
	v_add_f64 v[13:14], v[13:14], -v[54:55]
	s_waitcnt vmcnt(4)
	v_add_f64 v[19:20], v[19:20], -v[54:55]
	v_add_f64 v[17:18], v[17:18], -v[46:47]
	v_mul_f64 v[46:47], v[21:22], v[34:35]
	v_mul_f64 v[21:22], v[21:22], v[40:41]
	;; [unrolled: 1-line block ×6, first 2 shown]
	buffer_store_dword v67, off, s[0:3], 0 offset:344 ; 4-byte Folded Spill
	s_nop 0
	buffer_store_dword v68, off, s[0:3], 0 offset:348 ; 4-byte Folded Spill
	buffer_store_dword v52, off, s[0:3], 0 offset:320 ; 4-byte Folded Spill
	s_nop 0
	buffer_store_dword v53, off, s[0:3], 0 offset:324 ; 4-byte Folded Spill
	buffer_store_dword v50, off, s[0:3], 0 offset:296 ; 4-byte Folded Spill
	s_nop 0
	buffer_store_dword v51, off, s[0:3], 0 offset:300 ; 4-byte Folded Spill
	buffer_store_dword v1, off, s[0:3], 0 offset:200
	v_mov_b32_e32 v1, 0xa0
	v_fma_f64 v[44:45], v[67:68], v[59:60], -v[44:45]
	v_fma_f64 v[36:37], v[61:62], v[52:53], -v[36:37]
	;; [unrolled: 1-line block ×3, first 2 shown]
	v_mov_b32_e32 v50, 2
	buffer_store_dword v50, off, s[0:3], 0 offset:204
	v_mov_b32_e32 v53, -1
	v_mov_b32_e32 v67, -1
	;; [unrolled: 1-line block ×3, first 2 shown]
	v_fma_f64 v[46:47], v[30:31], v[44:45], v[46:47]
	v_fma_f64 v[48:49], v[30:31], v[36:37], v[48:49]
	;; [unrolled: 1-line block ×6, first 2 shown]
	v_mov_b32_e32 v33, 4
	v_mov_b32_e32 v42, 5
	v_fma_f64 v[31:32], v[27:28], v[36:37], v[38:39]
	v_mov_b32_e32 v36, 6
	v_mov_b32_e32 v37, 7
	;; [unrolled: 1-line block ×4, first 2 shown]
	buffer_store_dword v33, off, s[0:3], 0 offset:212
	buffer_store_dword v42, off, s[0:3], 0 offset:216
	;; [unrolled: 1-line block ×7, first 2 shown]
	buffer_store_dword v69, off, s[0:3], 0 offset:336 ; 4-byte Folded Spill
	s_nop 0
	buffer_store_dword v70, off, s[0:3], 0 offset:340 ; 4-byte Folded Spill
	buffer_store_dword v71, off, s[0:3], 0 offset:352 ; 4-byte Folded Spill
	s_nop 0
	buffer_store_dword v72, off, s[0:3], 0 offset:356 ; 4-byte Folded Spill
	;; [unrolled: 3-line block ×4, first 2 shown]
	buffer_store_dword v53, off, s[0:3], 0 offset:232
	buffer_store_dword v61, off, s[0:3], 0 offset:304 ; 4-byte Folded Spill
	s_nop 0
	buffer_store_dword v62, off, s[0:3], 0 offset:308 ; 4-byte Folded Spill
	buffer_store_dword v63, off, s[0:3], 0 offset:312 ; 4-byte Folded Spill
	s_nop 0
	buffer_store_dword v64, off, s[0:3], 0 offset:316 ; 4-byte Folded Spill
	v_mov_b32_e32 v36, v54
	v_mov_b32_e32 v37, v55
	buffer_store_dword v34, off, s[0:3], 0 offset:256 ; 4-byte Folded Spill
	s_nop 0
	buffer_store_dword v35, off, s[0:3], 0 offset:260 ; 4-byte Folded Spill
	buffer_store_dword v36, off, s[0:3], 0 offset:264 ; 4-byte Folded Spill
	;; [unrolled: 1-line block ×4, first 2 shown]
	s_nop 0
	buffer_store_dword v74, off, s[0:3], 0 offset:364 ; 4-byte Folded Spill
	v_fma_f64 v[17:18], v[27:28], v[40:41], v[17:18]
	v_mov_b32_e32 v68, -1
	v_fma_f64 v[3:4], v[71:72], v[69:70], -v[3:4]
	v_fma_f64 v[7:8], v[65:66], v[59:60], -v[7:8]
	;; [unrolled: 1-line block ×3, first 2 shown]
	v_fma_f64 v[33:34], v[27:28], v[44:45], v[34:35]
	v_div_fixup_f64 v[15:16], v[15:16], v[9:10], v[73:74]
	v_fma_f64 v[27:28], v[11:12], v[3:4], v[46:47]
	v_fma_f64 v[35:36], v[11:12], v[7:8], v[48:49]
	;; [unrolled: 1-line block ×9, first 2 shown]
	v_fma_f64 v[13:14], -v[35:36], v[15:16], 1.0
	v_mul_f64 v[61:62], v[35:36], v[15:16]
	v_fma_f64 v[17:18], -v[11:12], v[15:16], 1.0
	v_mul_f64 v[81:82], v[11:12], v[15:16]
	v_fma_f64 v[11:12], -v[7:8], v[15:16], 1.0
	v_mul_f64 v[79:80], v[7:8], v[15:16]
	v_mul_f64 v[25:26], v[27:28], v[15:16]
	v_mul_f64 v[3:4], v[9:10], v[15:16]
	v_fma_f64 v[65:66], -v[27:28], v[15:16], v[13:14]
	v_mul_f64 v[5:6], v[5:6], v[15:16]
	v_mul_f64 v[7:8], v[19:20], v[15:16]
	v_fma_f64 v[9:10], -v[23:24], v[15:16], v[17:18]
	v_fma_f64 v[11:12], -v[21:22], v[15:16], v[11:12]
	v_mul_f64 v[29:30], v[23:24], v[15:16]
	v_mul_f64 v[31:32], v[21:22], v[15:16]
	buffer_store_dword v26, off, s[0:3], 0 offset:4
	buffer_store_dword v25, off, s[0:3], 0
	buffer_store_dword v30, off, s[0:3], 0 offset:12
	buffer_store_dword v29, off, s[0:3], 0 offset:8
	;; [unrolled: 1-line block ×16, first 2 shown]
	v_mov_b32_e32 v13, v65
	v_mov_b32_e32 v14, v66
.LBB0_2:                                ; =>This Inner Loop Header: Depth=1
	v_lshl_add_u32 v15, v2, 2, v1
	buffer_load_dword v17, v15, s[0:3], 0 offen offset:40
	v_cmp_le_f64_e32 vcc, 0, v[13:14]
	v_cmp_gt_f64_e64 s[4:5], 0, v[13:14]
	v_mov_b32_e32 v54, v68
	s_waitcnt vmcnt(0)
	v_max_i32_e32 v18, 0, v17
	v_lshl_add_u32 v16, v18, 3, v1
	buffer_load_dword v15, v16, s[0:3], 0 offen
	s_nop 0
	buffer_load_dword v16, v16, s[0:3], 0 offen offset:4
	v_cmp_gt_i32_e64 s[6:7], 0, v17
	s_waitcnt vmcnt(0)
	v_cmp_gt_f64_e64 s[8:9], 0, v[15:16]
	v_cmp_le_f64_e64 s[10:11], 0, v[15:16]
	v_mov_b32_e32 v13, v15
	v_mov_b32_e32 v14, v16
	s_and_b64 vcc, vcc, s[8:9]
	s_and_b64 s[8:9], s[4:5], s[10:11]
	s_or_b64 s[12:13], s[6:7], s[12:13]
	s_andn2_b64 s[6:7], s[38:39], exec
	s_and_b64 s[4:5], s[4:5], exec
	v_cndmask_b32_e32 v51, v51, v18, vcc
	v_cndmask_b32_e64 v68, v54, v18, s[8:9]
	v_cndmask_b32_e32 v53, v53, v2, vcc
	v_cndmask_b32_e64 v67, v67, v2, s[8:9]
	v_mov_b32_e32 v2, v17
	s_or_b64 s[38:39], s[6:7], s[4:5]
	s_andn2_b64 exec, exec, s[12:13]
	s_cbranch_execnz .LBB0_2
; %bb.3:
	s_or_b64 exec, exec, s[12:13]
	v_add_f64 v[33:34], v[65:66], -v[3:4]
	v_add_f64 v[35:36], v[9:10], -v[5:6]
	;; [unrolled: 1-line block ×3, first 2 shown]
	v_mov_b32_e32 v39, 0
	v_mov_b32_e32 v40, v39
	;; [unrolled: 1-line block ×15, first 2 shown]
	v_cmp_lt_i32_e64 s[4:5], -1, v53
	v_mov_b32_e32 v2, v34
	v_mov_b32_e32 v3, v35
	;; [unrolled: 1-line block ×21, first 2 shown]
	v_mov_b32_e32 v23, -1
	v_mov_b32_e32 v24, -1
	v_mov_b32_e32 v25, v57
	v_mov_b32_e32 v26, v58
	v_mov_b32_e32 v27, v59
	v_mov_b32_e32 v28, v60
	v_mov_b32_e32 v29, v61
	v_mov_b32_e32 v30, v62
	v_mov_b32_e32 v31, v63
	v_mov_b32_e32 v32, v64
	s_and_saveexec_b64 s[40:41], s[4:5]
                                        ; implicit-def: $vgpr60
                                        ; implicit-def: $vgpr63
                                        ; implicit-def: $vgpr64
                                        ; implicit-def: $vgpr69
                                        ; implicit-def: $vgpr83
                                        ; implicit-def: $vgpr75
                                        ; implicit-def: $vgpr76
                                        ; implicit-def: $vgpr59
                                        ; implicit-def: $vgpr19_vgpr20
                                        ; implicit-def: $vgpr21_vgpr22
	s_cbranch_execz .LBB0_5
; %bb.4:
	v_lshlrev_b32_e32 v13, 3, v51
	v_lshlrev_b32_e32 v14, 3, v53
	v_add_u32_e32 v2, 0xa0, v13
	v_add_u32_e32 v6, 0xa0, v14
	buffer_load_dword v1, v2, s[0:3], 0 offen
	s_nop 0
	buffer_load_dword v2, v2, s[0:3], 0 offen offset:4
	s_nop 0
	buffer_load_dword v5, v6, s[0:3], 0 offen
	s_nop 0
	buffer_load_dword v6, v6, s[0:3], 0 offen offset:4
	v_cmp_eq_u32_e64 s[20:21], 1, v51
	v_cmp_eq_u32_e64 s[22:23], 2, v51
	;; [unrolled: 1-line block ×14, first 2 shown]
	v_mov_b32_e32 v23, 3
	v_mov_b32_e32 v24, 4
	;; [unrolled: 1-line block ×4, first 2 shown]
                                        ; implicit-def: $vgpr60
                                        ; implicit-def: $vgpr63
                                        ; implicit-def: $vgpr64
                                        ; implicit-def: $vgpr69
                                        ; implicit-def: $vgpr83
                                        ; implicit-def: $vgpr75
                                        ; implicit-def: $vgpr76
                                        ; implicit-def: $vgpr59
	s_waitcnt vmcnt(2)
	v_add_f64 v[3:4], -v[1:2], 0
	s_waitcnt vmcnt(0)
	v_add_f64 v[1:2], v[5:6], -v[1:2]
	v_div_scale_f64 v[5:6], s[6:7], v[1:2], v[1:2], v[3:4]
	v_cmp_eq_u32_e64 s[6:7], 2, v53
	v_rcp_f64_e32 v[7:8], v[5:6]
	v_fma_f64 v[9:10], -v[5:6], v[7:8], 1.0
	v_fma_f64 v[7:8], v[7:8], v[9:10], v[7:8]
	v_fma_f64 v[9:10], -v[5:6], v[7:8], 1.0
	v_fma_f64 v[7:8], v[7:8], v[9:10], v[7:8]
	v_div_scale_f64 v[9:10], vcc, v[3:4], v[1:2], v[3:4]
	v_mul_f64 v[11:12], v[9:10], v[7:8]
	v_fma_f64 v[5:6], -v[5:6], v[11:12], v[9:10]
	v_mov_b32_e32 v9, 5
	v_lshlrev_b32_e32 v10, 3, v68
	v_div_fmas_f64 v[5:6], v[5:6], v[7:8], v[11:12]
	v_cmp_eq_u32_e32 vcc, 1, v53
	v_div_fixup_f64 v[1:2], v[5:6], v[1:2], v[3:4]
	v_cndmask_b32_e64 v5, v62, v82, s[20:21]
	v_cndmask_b32_e64 v5, v5, v80, s[22:23]
	v_cndmask_b32_e64 v5, v5, v0, s[24:25]
	v_cndmask_b32_e64 v5, v5, v0, s[26:27]
	v_cndmask_b32_e64 v5, v5, v0, s[28:29]
	v_cndmask_b32_e64 v5, v5, v0, s[30:31]
	v_cndmask_b32_e64 v5, v5, v0, s[34:35]
	v_cndmask_b32_e64 v6, v5, v0, s[36:37]
	v_cndmask_b32_e64 v5, v61, v81, s[20:21]
	v_add_f64 v[7:8], -v[1:2], 1.0
	v_cndmask_b32_e32 v3, v62, v82, vcc
	v_cndmask_b32_e64 v5, v5, v79, s[22:23]
	v_cndmask_b32_e64 v3, v3, v80, s[6:7]
	;; [unrolled: 1-line block ×14, first 2 shown]
	v_cndmask_b32_e32 v3, v61, v81, vcc
	v_mul_f64 v[5:6], v[5:6], v[7:8]
	v_cndmask_b32_e64 v3, v3, v79, s[6:7]
	v_cndmask_b32_e64 v3, v3, v0, s[8:9]
	;; [unrolled: 1-line block ×7, first 2 shown]
	v_fma_f64 v[19:20], v[3:4], v[1:2], v[5:6]
	v_mov_b32_e32 v4, v14
	v_mov_b32_e32 v6, v13
	buffer_load_dword v3, v4, s[0:3], 0 offen
	s_nop 0
	buffer_load_dword v4, v4, s[0:3], 0 offen offset:4
	s_nop 0
	buffer_load_dword v5, v6, s[0:3], 0 offen
	s_nop 0
	buffer_load_dword v6, v6, s[0:3], 0 offen offset:4
	s_waitcnt vmcnt(0)
	v_mul_f64 v[5:6], v[7:8], v[5:6]
	v_fma_f64 v[3:4], v[1:2], v[3:4], v[5:6]
	buffer_store_dword v4, off, s[0:3], 0 offset:28
	buffer_store_dword v3, off, s[0:3], 0 offset:24
	v_add_u32_e32 v4, 0x50, v14
	v_add_u32_e32 v6, 0x50, v13
	buffer_load_dword v3, v4, s[0:3], 0 offen
	s_nop 0
	buffer_load_dword v4, v4, s[0:3], 0 offen offset:4
	s_nop 0
	buffer_load_dword v5, v6, s[0:3], 0 offen
	s_nop 0
	buffer_load_dword v6, v6, s[0:3], 0 offen offset:4
	s_waitcnt vmcnt(0)
	v_mul_f64 v[5:6], v[7:8], v[5:6]
	v_fma_f64 v[3:4], v[1:2], v[3:4], v[5:6]
	v_cndmask_b32_e64 v5, v34, v36, s[20:21]
	v_cndmask_b32_e64 v5, v5, v38, s[22:23]
	;; [unrolled: 1-line block ×9, first 2 shown]
	buffer_store_dword v4, off, s[0:3], 0 offset:108
	buffer_store_dword v3, off, s[0:3], 0 offset:104
	v_cndmask_b32_e32 v3, v34, v36, vcc
	v_cndmask_b32_e64 v5, v5, v37, s[22:23]
	v_cndmask_b32_e64 v3, v3, v38, s[6:7]
	;; [unrolled: 1-line block ×14, first 2 shown]
	v_cndmask_b32_e32 v3, v33, v35, vcc
	v_mul_f64 v[5:6], v[5:6], v[7:8]
	v_cndmask_b32_e64 v3, v3, v37, s[6:7]
	v_cndmask_b32_e64 v3, v3, 0, s[8:9]
	;; [unrolled: 1-line block ×7, first 2 shown]
	buffer_store_dword v9, off, s[0:3], 0 offset:244
	v_lshlrev_b32_e32 v9, 3, v67
	v_fma_f64 v[7:8], v[3:4], v[1:2], v[5:6]
	v_add_u32_e32 v2, 0xa0, v9
	v_add_u32_e32 v6, 0xa0, v10
	buffer_load_dword v1, v2, s[0:3], 0 offen
	s_nop 0
	buffer_load_dword v2, v2, s[0:3], 0 offen offset:4
	s_nop 0
	buffer_load_dword v5, v6, s[0:3], 0 offen
	s_nop 0
	buffer_load_dword v6, v6, s[0:3], 0 offen offset:4
	v_cmp_eq_u32_e64 s[36:37], 1, v68
	v_cmp_eq_u32_e64 s[34:35], 2, v68
	;; [unrolled: 1-line block ×14, first 2 shown]
	s_waitcnt vmcnt(2)
	v_add_f64 v[3:4], -v[1:2], 0
	s_waitcnt vmcnt(0)
	v_add_f64 v[1:2], v[5:6], -v[1:2]
	v_div_scale_f64 v[5:6], s[6:7], v[1:2], v[1:2], v[3:4]
	v_cmp_eq_u32_e64 s[6:7], 7, v68
	v_rcp_f64_e32 v[11:12], v[5:6]
	v_fma_f64 v[13:14], -v[5:6], v[11:12], 1.0
	v_fma_f64 v[11:12], v[11:12], v[13:14], v[11:12]
	v_fma_f64 v[13:14], -v[5:6], v[11:12], 1.0
	v_fma_f64 v[11:12], v[11:12], v[13:14], v[11:12]
	v_div_scale_f64 v[13:14], vcc, v[3:4], v[1:2], v[3:4]
	v_mul_f64 v[15:16], v[13:14], v[11:12]
	v_fma_f64 v[5:6], -v[5:6], v[15:16], v[13:14]
	v_mov_b32_e32 v13, v39
	v_mov_b32_e32 v14, v39
	v_div_fmas_f64 v[5:6], v[5:6], v[11:12], v[15:16]
	v_cmp_eq_u32_e32 vcc, 8, v68
	v_mov_b32_e32 v15, v39
	v_mov_b32_e32 v16, v39
	v_div_fixup_f64 v[1:2], v[5:6], v[1:2], v[3:4]
	v_cndmask_b32_e64 v3, v62, v82, s[36:37]
	v_cndmask_b32_e64 v3, v3, v80, s[34:35]
	;; [unrolled: 1-line block ×7, first 2 shown]
	v_cndmask_b32_e32 v6, v3, v0, vcc
	v_cndmask_b32_e64 v3, v61, v81, s[36:37]
	v_cndmask_b32_e64 v3, v3, v79, s[34:35]
	;; [unrolled: 1-line block ×7, first 2 shown]
	v_cndmask_b32_e32 v5, v3, v0, vcc
	v_cndmask_b32_e64 v3, v62, v82, s[16:17]
	v_cndmask_b32_e64 v3, v3, v80, s[30:31]
	;; [unrolled: 1-line block ×16, first 2 shown]
	v_add_f64 v[3:4], -v[1:2], 1.0
	v_mul_f64 v[11:12], v[11:12], v[3:4]
	v_fma_f64 v[21:22], v[5:6], v[1:2], v[11:12]
	v_mov_b32_e32 v5, v10
	v_mov_b32_e32 v11, v9
	buffer_load_dword v6, v5, s[0:3], 0 offen offset:4
	s_nop 0
	buffer_load_dword v5, v5, s[0:3], 0 offen
	s_nop 0
	buffer_load_dword v12, v11, s[0:3], 0 offen offset:4
	s_nop 0
	buffer_load_dword v11, v11, s[0:3], 0 offen
	v_add_u32_e32 v9, 0x50, v9
	s_waitcnt vmcnt(0)
	v_mul_f64 v[11:12], v[3:4], v[11:12]
	v_fma_f64 v[5:6], v[1:2], v[5:6], v[11:12]
	buffer_store_dword v6, off, s[0:3], 0 offset:36
	buffer_store_dword v5, off, s[0:3], 0 offset:32
	v_add_u32_e32 v5, 0x50, v10
	buffer_load_dword v6, v5, s[0:3], 0 offen offset:4
	s_nop 0
	buffer_load_dword v5, v5, s[0:3], 0 offen
	s_nop 0
	buffer_load_dword v10, v9, s[0:3], 0 offen offset:4
	s_nop 0
	buffer_load_dword v9, v9, s[0:3], 0 offen
	v_mov_b32_e32 v11, v39
	v_mov_b32_e32 v12, v39
	s_waitcnt vmcnt(0)
	v_mul_f64 v[9:10], v[3:4], v[9:10]
	v_fma_f64 v[5:6], v[1:2], v[5:6], v[9:10]
	v_cndmask_b32_e64 v9, v34, v36, s[16:17]
	v_cndmask_b32_e64 v9, v9, v38, s[30:31]
	;; [unrolled: 1-line block ×9, first 2 shown]
	buffer_store_dword v6, off, s[0:3], 0 offset:116
	buffer_store_dword v5, off, s[0:3], 0 offset:112
	v_cndmask_b32_e64 v5, v34, v36, s[36:37]
	v_cndmask_b32_e64 v9, v9, v37, s[30:31]
	v_cndmask_b32_e64 v5, v5, v38, s[34:35]
	v_cndmask_b32_e64 v9, v9, v7, s[28:29]
	v_cndmask_b32_e64 v5, v5, v8, s[14:15]
	v_cndmask_b32_e64 v9, v9, 0, s[26:27]
	v_cndmask_b32_e64 v5, v5, 0, s[12:13]
	v_cndmask_b32_e64 v9, v9, 0, s[24:25]
	v_cndmask_b32_e64 v5, v5, 0, s[10:11]
	v_cndmask_b32_e64 v9, v9, 0, s[22:23]
	v_cndmask_b32_e64 v5, v5, 0, s[8:9]
	v_cndmask_b32_e64 v9, v9, 0, s[20:21]
	v_cndmask_b32_e64 v5, v5, 0, s[6:7]
	v_cndmask_b32_e64 v9, v9, 0, s[18:19]
	v_cndmask_b32_e64 v6, v5, 0, vcc
	v_cndmask_b32_e64 v5, v33, v35, s[36:37]
	v_mul_f64 v[3:4], v[9:10], v[3:4]
	v_cndmask_b32_e64 v5, v5, v37, s[34:35]
	v_cndmask_b32_e64 v5, v5, v7, s[14:15]
	;; [unrolled: 1-line block ×6, first 2 shown]
	v_cndmask_b32_e64 v5, v5, 0, vcc
	v_fma_f64 v[9:10], v[5:6], v[1:2], v[3:4]
	v_mov_b32_e32 v1, v33
	v_mov_b32_e32 v2, v34
	;; [unrolled: 1-line block ×6, first 2 shown]
.LBB0_5:
	s_or_b64 exec, exec, s[40:41]
	v_mov_b32_e32 v25, -1
	s_mov_b64 s[6:7], 0
	buffer_store_dword v25, off, s[0:3], 0 offset:240
	s_branch .LBB0_7
.LBB0_6:                                ;   in Loop: Header=BB0_7 Depth=1
	s_or_b64 exec, exec, s[10:11]
	s_waitcnt vmcnt(0)
	v_cmp_gt_i32_e32 vcc, 0, v25
	s_or_b64 s[6:7], vcc, s[6:7]
	v_mov_b32_e32 v39, v25
	s_andn2_b64 exec, exec, s[6:7]
	s_cbranch_execz .LBB0_13
.LBB0_7:                                ; =>This Inner Loop Header: Depth=1
	v_lshlrev_b32_e32 v25, 2, v39
	v_add_u32_e32 v26, 0xa0, v25
	v_add_u32_e32 v25, v26, v25
	buffer_load_dword v27, v25, s[0:3], 0 offen
	buffer_load_dword v28, v25, s[0:3], 0 offen offset:4
	s_nop 0
	buffer_load_dword v25, v26, s[0:3], 0 offen offset:40
	s_mov_b64 s[8:9], 0
	s_waitcnt vmcnt(1)
	v_cmp_ngt_f64_e32 vcc, 0, v[27:28]
	s_and_saveexec_b64 s[10:11], vcc
	s_xor_b64 s[10:11], exec, s[10:11]
	s_cbranch_execnz .LBB0_10
; %bb.8:                                ;   in Loop: Header=BB0_7 Depth=1
	s_or_saveexec_b64 s[10:11], s[10:11]
	v_mov_b32_e32 v27, 0xf0
	s_xor_b64 exec, exec, s[10:11]
	s_cbranch_execnz .LBB0_11
.LBB0_9:                                ;   in Loop: Header=BB0_7 Depth=1
	s_or_b64 exec, exec, s[10:11]
	s_and_saveexec_b64 s[10:11], s[8:9]
	s_cbranch_execz .LBB0_6
	s_branch .LBB0_12
.LBB0_10:                               ;   in Loop: Header=BB0_7 Depth=1
	buffer_load_dword v26, off, s[0:3], 0 offset:240
	s_waitcnt vmcnt(0)
	v_cmp_eq_u32_e32 vcc, -1, v26
	s_and_b64 s[8:9], vcc, exec
                                        ; implicit-def: $vgpr26
	s_or_saveexec_b64 s[10:11], s[10:11]
	v_mov_b32_e32 v27, 0xf0
	s_xor_b64 exec, exec, s[10:11]
	s_cbranch_execz .LBB0_9
.LBB0_11:                               ;   in Loop: Header=BB0_7 Depth=1
	buffer_load_dword v28, off, s[0:3], 0 offset:244
	v_mov_b32_e32 v27, 0xf4
	s_or_b64 s[8:9], s[8:9], exec
	s_waitcnt vmcnt(0)
	buffer_store_dword v28, v26, s[0:3], 0 offen offset:40
	s_or_b64 exec, exec, s[10:11]
	s_and_saveexec_b64 s[10:11], s[8:9]
	s_cbranch_execz .LBB0_6
.LBB0_12:                               ;   in Loop: Header=BB0_7 Depth=1
	buffer_store_dword v39, v27, s[0:3], 0 offen
	s_branch .LBB0_6
.LBB0_13:
	s_or_b64 exec, exec, s[6:7]
	s_and_saveexec_b64 s[6:7], s[4:5]
	s_cbranch_execz .LBB0_15
; %bb.14:
	v_cmp_gt_f64_e32 vcc, 0, v[65:66]
	v_mov_b32_e32 v25, 0xa0
	v_lshl_add_u32 v26, v53, 2, v25
	v_lshl_add_u32 v27, v23, 2, v25
	;; [unrolled: 1-line block ×3, first 2 shown]
	buffer_store_dword v23, v26, s[0:3], 0 offen offset:40
	s_or_b64 s[4:5], s[38:39], vcc
	v_cndmask_b32_e64 v23, v54, -1, s[4:5]
	buffer_store_dword v24, v27, s[0:3], 0 offen offset:40
	buffer_store_dword v23, v25, s[0:3], 0 offen offset:40
.LBB0_15:
	s_or_b64 exec, exec, s[6:7]
	buffer_load_dword v31, off, s[0:3], 0 offset:240
	v_mov_b32_e32 v23, 0
	v_mov_b32_e32 v24, 0
	s_waitcnt vmcnt(0)
	v_cmp_lt_i32_e64 s[4:5], -1, v31
	s_and_saveexec_b64 s[20:21], s[4:5]
	s_cbranch_execz .LBB0_17
; %bb.16:
	v_cmp_eq_u32_e32 vcc, 1, v31
	v_cndmask_b32_e32 v23, v62, v82, vcc
	v_cmp_eq_u32_e64 s[6:7], 2, v31
	v_cndmask_b32_e64 v23, v23, v80, s[6:7]
	v_cmp_eq_u32_e64 s[8:9], 3, v31
	v_cndmask_b32_e64 v23, v23, v20, s[8:9]
	;; [unrolled: 2-line block ×7, first 2 shown]
	v_cndmask_b32_e32 v23, v61, v81, vcc
	v_cndmask_b32_e64 v23, v23, v79, s[6:7]
	v_cndmask_b32_e64 v23, v23, v19, s[8:9]
	;; [unrolled: 1-line block ×7, first 2 shown]
.LBB0_17:
	s_or_b64 exec, exec, s[20:21]
	v_mov_b32_e32 v26, v24
	v_mov_b32_e32 v32, -1
	v_mov_b32_e32 v36, -1
	;; [unrolled: 1-line block ×3, first 2 shown]
	v_mov_b32_e32 v25, v23
	v_mov_b32_e32 v33, -1
	s_and_saveexec_b64 s[14:15], s[4:5]
	s_cbranch_execz .LBB0_21
; %bb.18:
	v_mov_b32_e32 v28, v24
	v_mov_b32_e32 v32, -1
	s_mov_b64 s[16:17], 0
	v_mov_b32_e32 v29, 0xa0
	v_mov_b32_e32 v30, v31
	v_mov_b32_e32 v36, -1
	v_mov_b32_e32 v52, -1
	;; [unrolled: 1-line block ×3, first 2 shown]
	v_mov_b32_e32 v27, v23
.LBB0_19:                               ; =>This Inner Loop Header: Depth=1
	v_lshl_add_u32 v25, v30, 2, v29
	buffer_load_dword v34, v25, s[0:3], 0 offen offset:40
	v_mov_b32_e32 v25, v27
	v_mov_b32_e32 v26, v28
	v_cmp_le_f64_e32 vcc, 0, v[25:26]
	s_waitcnt vmcnt(0)
	v_cmp_gt_i32_e64 s[6:7], 0, v34
	v_cndmask_b32_e64 v35, v34, v31, s[6:7]
	v_cmp_eq_u32_e64 s[8:9], 1, v35
	v_cndmask_b32_e64 v27, v62, v82, s[8:9]
	v_cmp_eq_u32_e64 s[10:11], 2, v35
	v_cndmask_b32_e64 v27, v27, v80, s[10:11]
	v_cndmask_b32_e64 v28, v61, v81, s[8:9]
	v_cmp_eq_u32_e64 s[8:9], 3, v35
	v_cndmask_b32_e64 v27, v27, v20, s[8:9]
	;; [unrolled: 3-line block ×7, first 2 shown]
	v_cndmask_b32_e64 v27, v37, v63, s[8:9]
	v_cndmask_b32_e64 v27, v27, v60, s[10:11]
	v_cmp_gt_f64_e64 s[8:9], 0, v[27:28]
	v_cmp_gt_f64_e64 s[10:11], 0, v[25:26]
	v_cmp_le_f64_e64 s[12:13], 0, v[27:28]
	s_and_b64 vcc, vcc, s[8:9]
	v_cndmask_b32_e32 v52, v52, v35, vcc
	s_and_b64 s[8:9], s[10:11], s[12:13]
	v_cndmask_b32_e64 v33, v33, v35, s[8:9]
	v_cndmask_b32_e32 v32, v32, v30, vcc
	v_cndmask_b32_e64 v36, v36, v30, s[8:9]
	s_or_b64 s[16:17], s[6:7], s[16:17]
	v_mov_b32_e32 v30, v34
	s_andn2_b64 exec, exec, s[16:17]
	s_cbranch_execnz .LBB0_19
; %bb.20:
	s_or_b64 exec, exec, s[16:17]
.LBB0_21:
	s_or_b64 exec, exec, s[14:15]
	v_cmp_lt_i32_e64 s[6:7], -1, v32
	v_mov_b32_e32 v34, -1
	v_mov_b32_e32 v35, -1
	s_and_saveexec_b64 s[64:65], s[6:7]
	s_cbranch_execz .LBB0_23
; %bb.22:
	buffer_load_dword v34, off, s[0:3], 0 offset:244
	v_mov_b32_e32 v51, 0xa0
	v_cmp_eq_u32_e64 s[40:41], 1, v52
	v_cmp_eq_u32_e64 s[42:43], 1, v32
	;; [unrolled: 1-line block ×3, first 2 shown]
	v_cndmask_b32_e64 v29, v62, v82, s[42:43]
	v_cmp_eq_u32_e64 s[44:45], 2, v32
	v_cmp_eq_u32_e64 s[36:37], 3, v52
	v_cndmask_b32_e64 v29, v29, v80, s[44:45]
	v_cmp_eq_u32_e64 s[46:47], 3, v32
	v_cmp_eq_u32_e64 s[34:35], 4, v52
	;; [unrolled: 3-line block ×6, first 2 shown]
	v_cndmask_b32_e64 v29, v29, v75, s[54:55]
	v_cmp_eq_u32_e64 s[56:57], 8, v32
	v_cndmask_b32_e64 v40, v29, v83, s[56:57]
	v_cndmask_b32_e64 v29, v61, v81, s[42:43]
	;; [unrolled: 1-line block ×9, first 2 shown]
	v_lshlrev_b32_e32 v55, 3, v32
	v_lshlrev_b32_e32 v52, 3, v52
	v_mov_b32_e32 v56, v52
	v_add_u32_e32 v52, 0x50, v52
	s_waitcnt vmcnt(0)
	v_lshl_add_u32 v27, v34, 2, v51
	buffer_load_dword v35, v27, s[0:3], 0 offen offset:40
	v_cndmask_b32_e64 v27, v62, v82, s[40:41]
	v_cndmask_b32_e64 v27, v27, v80, s[38:39]
	;; [unrolled: 1-line block ×16, first 2 shown]
	v_add_f64 v[27:28], -v[37:38], 0
	v_add_f64 v[29:30], v[39:40], -v[37:38]
	v_cmp_eq_u32_e64 s[16:17], 3, v34
	v_cmp_eq_u32_e64 s[12:13], 5, v34
	;; [unrolled: 1-line block ×7, first 2 shown]
	v_div_scale_f64 v[41:42], s[8:9], v[29:30], v[29:30], v[27:28]
	v_cmp_eq_u32_e64 s[8:9], 7, v34
	v_rcp_f64_e32 v[43:44], v[41:42]
	v_fma_f64 v[45:46], -v[41:42], v[43:44], 1.0
	v_fma_f64 v[43:44], v[43:44], v[45:46], v[43:44]
	v_fma_f64 v[45:46], -v[41:42], v[43:44], 1.0
	v_fma_f64 v[43:44], v[43:44], v[45:46], v[43:44]
	v_div_scale_f64 v[45:46], vcc, v[27:28], v[29:30], v[27:28]
	v_mul_f64 v[47:48], v[45:46], v[43:44]
	v_fma_f64 v[41:42], -v[41:42], v[47:48], v[45:46]
	s_nop 1
	v_div_fmas_f64 v[41:42], v[41:42], v[43:44], v[47:48]
	v_cmp_eq_u32_e32 vcc, 8, v34
	v_div_fixup_f64 v[27:28], v[41:42], v[29:30], v[27:28]
	v_add_f64 v[29:30], -v[27:28], 1.0
	v_mul_f64 v[37:38], v[37:38], v[29:30]
	v_fma_f64 v[65:66], v[39:40], v[27:28], v[37:38]
	v_cndmask_b32_e64 v48, v20, v66, s[16:17]
	v_mov_b32_e32 v20, v55
	v_cndmask_b32_e32 v44, v60, v65, vcc
	v_cndmask_b32_e64 v40, v19, v65, s[16:17]
	v_cndmask_b32_e64 v49, v59, v66, s[12:13]
	buffer_load_dword v19, v20, s[0:3], 0 offen
	s_nop 0
	buffer_load_dword v20, v20, s[0:3], 0 offen offset:4
	s_nop 0
	buffer_load_dword v59, v56, s[0:3], 0 offen
	buffer_load_dword v60, v56, s[0:3], 0 offen offset:4
	v_lshlrev_b32_e32 v56, 3, v34
	v_cndmask_b32_e64 v43, v63, v65, s[8:9]
	v_cndmask_b32_e64 v53, v75, v66, s[8:9]
	;; [unrolled: 1-line block ×13, first 2 shown]
	v_cndmask_b32_e32 v54, v83, v66, vcc
	s_waitcnt vmcnt(0)
	v_mul_f64 v[59:60], v[29:30], v[59:60]
	v_fma_f64 v[19:20], v[27:28], v[19:20], v[59:60]
	v_mov_b32_e32 v59, v56
	buffer_store_dword v20, v59, s[0:3], 0 offen offset:4
	buffer_store_dword v19, v59, s[0:3], 0 offen
	v_add_u32_e32 v20, 0x50, v55
	buffer_load_dword v19, v20, s[0:3], 0 offen
	s_nop 0
	buffer_load_dword v20, v20, s[0:3], 0 offen offset:4
	s_nop 0
	buffer_load_dword v59, v52, s[0:3], 0 offen
	buffer_load_dword v60, v52, s[0:3], 0 offen offset:4
	v_add_u32_e32 v52, 0x50, v56
	s_waitcnt vmcnt(0)
	v_mul_f64 v[59:60], v[29:30], v[59:60]
	v_fma_f64 v[19:20], v[27:28], v[19:20], v[59:60]
	buffer_store_dword v20, v52, s[0:3], 0 offen offset:4
	buffer_store_dword v19, v52, s[0:3], 0 offen
	v_cndmask_b32_e64 v52, v2, v4, s[40:41]
	v_cndmask_b32_e64 v52, v52, v6, s[38:39]
	;; [unrolled: 1-line block ×25, first 2 shown]
	v_mul_f64 v[29:30], v[59:60], v[29:30]
	v_cndmask_b32_e64 v19, v19, v5, s[44:45]
	v_cndmask_b32_e64 v19, v19, v7, s[46:47]
	;; [unrolled: 1-line block ×7, first 2 shown]
	v_fma_f64 v[19:20], v[19:20], v[27:28], v[29:30]
	v_cmp_eq_u32_e64 s[42:43], 1, v33
	v_cmp_eq_u32_e64 s[44:45], 2, v33
	;; [unrolled: 1-line block ×7, first 2 shown]
	v_cndmask_b32_e64 v27, v1, v19, s[22:23]
	v_lshl_add_u32 v1, v35, 2, v51
	buffer_load_dword v1, v1, s[0:3], 0 offen offset:40
	v_cndmask_b32_e64 v15, v15, v19, s[8:9]
	v_cndmask_b32_e64 v16, v16, v20, s[8:9]
	v_cmp_eq_u32_e64 s[8:9], 1, v36
	v_cndmask_b32_e64 v13, v13, v19, s[10:11]
	v_cndmask_b32_e64 v28, v3, v19, s[20:21]
	v_cndmask_b32_e64 v14, v14, v20, s[10:11]
	v_cmp_eq_u32_e64 s[10:11], 2, v36
	v_cndmask_b32_e64 v3, v45, v46, s[42:43]
	;; [unrolled: 4-line block ×6, first 2 shown]
	v_cndmask_b32_e64 v30, v4, v20, s[20:21]
	v_cmp_eq_u32_e64 s[20:21], 7, v36
	v_cndmask_b32_e64 v3, v3, v50, s[52:53]
	v_cndmask_b32_e64 v29, v2, v20, s[22:23]
	v_cmp_eq_u32_e64 s[22:23], 8, v36
	v_cndmask_b32_e64 v3, v3, v53, s[54:55]
	v_cmp_eq_u32_e64 s[56:57], 8, v33
	v_cndmask_b32_e32 v18, v18, v20, vcc
	v_cndmask_b32_e64 v52, v3, v54, s[56:57]
	v_cndmask_b32_e64 v3, v37, v38, s[42:43]
	;; [unrolled: 1-line block ×8, first 2 shown]
	v_cndmask_b32_e32 v17, v17, v19, vcc
	v_cndmask_b32_e64 v51, v3, v44, s[56:57]
	v_cmp_eq_u32_e64 s[26:27], 6, v35
	v_cmp_eq_u32_e64 s[28:29], 5, v35
	;; [unrolled: 1-line block ×7, first 2 shown]
	s_waitcnt vmcnt(0)
	buffer_store_dword v1, off, s[0:3], 0 offset:244
	v_cndmask_b32_e64 v1, v45, v46, s[8:9]
	v_cndmask_b32_e64 v1, v1, v47, s[10:11]
	;; [unrolled: 1-line block ×16, first 2 shown]
	v_add_f64 v[1:2], -v[19:20], 0
	v_add_f64 v[3:4], v[51:52], -v[19:20]
	v_div_scale_f64 v[59:60], s[24:25], v[3:4], v[3:4], v[1:2]
	v_cmp_eq_u32_e64 s[24:25], 7, v35
	v_rcp_f64_e32 v[61:62], v[59:60]
	v_fma_f64 v[63:64], -v[59:60], v[61:62], 1.0
	v_fma_f64 v[61:62], v[61:62], v[63:64], v[61:62]
	v_fma_f64 v[63:64], -v[59:60], v[61:62], 1.0
	v_fma_f64 v[61:62], v[61:62], v[63:64], v[61:62]
	v_div_scale_f64 v[63:64], vcc, v[1:2], v[3:4], v[1:2]
	v_mul_f64 v[65:66], v[63:64], v[61:62]
	v_fma_f64 v[59:60], -v[59:60], v[65:66], v[63:64]
	s_nop 1
	v_div_fmas_f64 v[59:60], v[59:60], v[61:62], v[65:66]
	v_cmp_eq_u32_e32 vcc, 8, v35
	v_div_fixup_f64 v[1:2], v[59:60], v[3:4], v[1:2]
	v_add_f64 v[3:4], -v[1:2], 1.0
	v_mul_f64 v[19:20], v[19:20], v[3:4]
	v_fma_f64 v[51:52], v[51:52], v[1:2], v[19:20]
	v_cndmask_b32_e64 v64, v42, v51, s[26:27]
	v_cndmask_b32_e64 v69, v41, v51, s[28:29]
	v_lshlrev_b32_e32 v41, 3, v33
	v_lshlrev_b32_e32 v42, 3, v36
	v_cndmask_b32_e64 v61, v37, v51, s[40:41]
	v_mov_b32_e32 v37, v41
	v_mov_b32_e32 v36, v42
	v_cndmask_b32_e64 v19, v40, v51, s[34:35]
	v_cndmask_b32_e64 v79, v39, v51, s[36:37]
	;; [unrolled: 1-line block ×3, first 2 shown]
	buffer_load_dword v38, v37, s[0:3], 0 offen offset:4
	s_nop 0
	buffer_load_dword v37, v37, s[0:3], 0 offen
	s_nop 0
	buffer_load_dword v40, v36, s[0:3], 0 offen offset:4
	buffer_load_dword v39, v36, s[0:3], 0 offen
	v_cndmask_b32_e32 v83, v54, v52, vcc
	v_cndmask_b32_e32 v60, v44, v51, vcc
	v_cndmask_b32_e64 v75, v53, v52, s[24:25]
	v_cndmask_b32_e64 v63, v43, v51, s[24:25]
	;; [unrolled: 1-line block ×10, first 2 shown]
	s_waitcnt vmcnt(0)
	v_mul_f64 v[39:40], v[3:4], v[39:40]
	v_fma_f64 v[36:37], v[1:2], v[37:38], v[39:40]
	v_lshlrev_b32_e32 v40, 3, v35
	v_mov_b32_e32 v38, v40
	buffer_store_dword v36, v38, s[0:3], 0 offen
	buffer_store_dword v37, v38, s[0:3], 0 offen offset:4
	v_add_u32_e32 v36, 0x50, v41
	v_add_u32_e32 v38, 0x50, v42
	buffer_load_dword v37, v36, s[0:3], 0 offen offset:4
	s_nop 0
	buffer_load_dword v36, v36, s[0:3], 0 offen
	s_nop 0
	buffer_load_dword v39, v38, s[0:3], 0 offen offset:4
	s_nop 0
	buffer_load_dword v38, v38, s[0:3], 0 offen
	s_waitcnt vmcnt(0)
	v_mul_f64 v[38:39], v[3:4], v[38:39]
	v_fma_f64 v[36:37], v[1:2], v[36:37], v[38:39]
	v_add_u32_e32 v38, 0x50, v40
	buffer_store_dword v36, v38, s[0:3], 0 offen
	buffer_store_dword v37, v38, s[0:3], 0 offen offset:4
	v_cndmask_b32_e64 v38, v29, v30, s[8:9]
	v_cndmask_b32_e64 v38, v38, v6, s[10:11]
	;; [unrolled: 1-line block ×25, first 2 shown]
	v_mul_f64 v[3:4], v[38:39], v[3:4]
	v_cndmask_b32_e64 v36, v36, v5, s[44:45]
	v_cndmask_b32_e64 v36, v36, v7, s[46:47]
	;; [unrolled: 1-line block ×7, first 2 shown]
	v_fma_f64 v[1:2], v[36:37], v[1:2], v[3:4]
	v_cndmask_b32_e32 v18, v18, v2, vcc
	v_cndmask_b32_e32 v17, v17, v1, vcc
	v_cndmask_b32_e64 v16, v16, v2, s[24:25]
	v_cndmask_b32_e64 v15, v15, v1, s[24:25]
	;; [unrolled: 1-line block ×16, first 2 shown]
.LBB0_23:
	s_or_b64 exec, exec, s[64:65]
	v_mov_b32_e32 v27, -1
	buffer_store_dword v27, off, s[0:3], 0 offset:240
	s_and_saveexec_b64 s[20:21], s[4:5]
	s_cbranch_execz .LBB0_32
; %bb.24:
	s_mov_b64 s[22:23], 0
	v_mov_b32_e32 v27, 0xa0
	s_branch .LBB0_26
.LBB0_25:                               ;   in Loop: Header=BB0_26 Depth=1
	s_or_b64 exec, exec, s[8:9]
	s_waitcnt vmcnt(0)
	v_cmp_gt_i32_e32 vcc, 0, v28
	s_or_b64 s[22:23], vcc, s[22:23]
	v_mov_b32_e32 v31, v28
	s_andn2_b64 exec, exec, s[22:23]
	s_cbranch_execz .LBB0_32
.LBB0_26:                               ; =>This Inner Loop Header: Depth=1
	v_lshl_add_u32 v29, v31, 2, v27
	buffer_load_dword v28, v29, s[0:3], 0 offen offset:40
	v_cmp_eq_u32_e32 vcc, 1, v31
	v_cndmask_b32_e32 v30, v62, v82, vcc
	v_cmp_eq_u32_e64 s[4:5], 2, v31
	v_cndmask_b32_e64 v30, v30, v80, s[4:5]
	v_cmp_eq_u32_e64 s[8:9], 3, v31
	v_cndmask_b32_e64 v30, v30, v20, s[8:9]
	;; [unrolled: 2-line block ×7, first 2 shown]
	v_cndmask_b32_e32 v30, v61, v81, vcc
	v_cndmask_b32_e64 v30, v30, v79, s[4:5]
	v_cndmask_b32_e64 v30, v30, v19, s[8:9]
	;; [unrolled: 1-line block ×7, first 2 shown]
	v_cmp_ngt_f64_e32 vcc, 0, v[36:37]
	s_mov_b64 s[4:5], 0
	s_and_saveexec_b64 s[8:9], vcc
	s_xor_b64 s[8:9], exec, s[8:9]
	s_cbranch_execnz .LBB0_29
; %bb.27:                               ;   in Loop: Header=BB0_26 Depth=1
	s_or_saveexec_b64 s[8:9], s[8:9]
	v_mov_b32_e32 v30, 0xf0
	s_xor_b64 exec, exec, s[8:9]
	s_cbranch_execnz .LBB0_30
.LBB0_28:                               ;   in Loop: Header=BB0_26 Depth=1
	s_or_b64 exec, exec, s[8:9]
	s_and_saveexec_b64 s[8:9], s[4:5]
	s_cbranch_execz .LBB0_25
	s_branch .LBB0_31
.LBB0_29:                               ;   in Loop: Header=BB0_26 Depth=1
	buffer_load_dword v29, off, s[0:3], 0 offset:240
	s_waitcnt vmcnt(0)
	v_cmp_eq_u32_e32 vcc, -1, v29
	s_and_b64 s[4:5], vcc, exec
                                        ; implicit-def: $vgpr29
	s_or_saveexec_b64 s[8:9], s[8:9]
	v_mov_b32_e32 v30, 0xf0
	s_xor_b64 exec, exec, s[8:9]
	s_cbranch_execz .LBB0_28
.LBB0_30:                               ;   in Loop: Header=BB0_26 Depth=1
	buffer_load_dword v36, off, s[0:3], 0 offset:244
	v_mov_b32_e32 v30, 0xf4
	s_or_b64 s[4:5], s[4:5], exec
	s_waitcnt vmcnt(0)
	buffer_store_dword v36, v29, s[0:3], 0 offen offset:40
	s_or_b64 exec, exec, s[8:9]
	s_and_saveexec_b64 s[8:9], s[4:5]
	s_cbranch_execz .LBB0_25
.LBB0_31:                               ;   in Loop: Header=BB0_26 Depth=1
	buffer_store_dword v31, v30, s[0:3], 0 offen
	s_branch .LBB0_25
.LBB0_32:
	s_or_b64 exec, exec, s[20:21]
	s_and_saveexec_b64 s[4:5], s[6:7]
	s_cbranch_execz .LBB0_34
; %bb.33:
	v_max_f64 v[23:24], v[23:24], v[23:24]
	v_max_f64 v[25:26], v[25:26], v[25:26]
	v_min_f64 v[23:24], v[25:26], v[23:24]
	v_mov_b32_e32 v25, 0xa0
	v_lshl_add_u32 v26, v32, 2, v25
	v_lshl_add_u32 v27, v34, 2, v25
	;; [unrolled: 1-line block ×3, first 2 shown]
	buffer_store_dword v34, v26, s[0:3], 0 offen offset:40
	v_cmp_ngt_f64_e32 vcc, 0, v[23:24]
	v_cndmask_b32_e32 v23, -1, v33, vcc
	buffer_store_dword v35, v27, s[0:3], 0 offen offset:40
	buffer_store_dword v23, v25, s[0:3], 0 offen offset:40
.LBB0_34:
	s_or_b64 exec, exec, s[4:5]
	buffer_load_dword v32, off, s[0:3], 0 offset:240
	v_mov_b32_e32 v23, 0
	v_mov_b32_e32 v24, 0
	s_waitcnt vmcnt(0)
	v_cmp_lt_i32_e64 s[4:5], -1, v32
	s_and_saveexec_b64 s[6:7], s[4:5]
	s_cbranch_execz .LBB0_36
; %bb.35:
	v_mov_b32_e32 v23, 0
	v_lshl_add_u32 v24, v32, 3, v23
	buffer_load_dword v23, v24, s[0:3], 0 offen
	s_nop 0
	buffer_load_dword v24, v24, s[0:3], 0 offen offset:4
.LBB0_36:
	s_or_b64 exec, exec, s[6:7]
	s_waitcnt vmcnt(0)
	v_mov_b32_e32 v26, v24
	v_mov_b32_e32 v31, -1
	v_mov_b32_e32 v40, -1
	;; [unrolled: 1-line block ×3, first 2 shown]
	v_mov_b32_e32 v25, v23
	v_mov_b32_e32 v33, -1
	s_and_saveexec_b64 s[14:15], s[4:5]
	s_cbranch_execz .LBB0_40
; %bb.37:
	v_mov_b32_e32 v28, v24
	v_mov_b32_e32 v31, -1
	s_mov_b64 s[16:17], 0
	v_mov_b32_e32 v30, 0xa0
	v_mov_b32_e32 v34, 0
	;; [unrolled: 1-line block ×3, first 2 shown]
	v_mov_b32_e32 v40, -1
	v_mov_b32_e32 v29, -1
	;; [unrolled: 1-line block ×3, first 2 shown]
	v_mov_b32_e32 v27, v23
.LBB0_38:                               ; =>This Inner Loop Header: Depth=1
	v_lshl_add_u32 v25, v35, 2, v30
	buffer_load_dword v38, v25, s[0:3], 0 offen offset:40
	s_waitcnt vmcnt(0)
	v_cmp_gt_i32_e32 vcc, 0, v38
	v_cndmask_b32_e32 v39, v38, v32, vcc
	v_lshl_add_u32 v25, v39, 3, v34
	buffer_load_dword v36, v25, s[0:3], 0 offen
	buffer_load_dword v37, v25, s[0:3], 0 offen offset:4
	v_mov_b32_e32 v25, v27
	v_mov_b32_e32 v26, v28
	v_cmp_le_f64_e64 s[6:7], 0, v[25:26]
	v_cmp_gt_f64_e64 s[10:11], 0, v[25:26]
	s_waitcnt vmcnt(0)
	v_cmp_gt_f64_e64 s[8:9], 0, v[36:37]
	v_cmp_le_f64_e64 s[12:13], 0, v[36:37]
	v_mov_b32_e32 v27, v36
	v_mov_b32_e32 v28, v37
	s_and_b64 s[6:7], s[6:7], s[8:9]
	s_and_b64 s[8:9], s[10:11], s[12:13]
	v_cndmask_b32_e64 v29, v29, v39, s[6:7]
	v_cndmask_b32_e64 v33, v33, v39, s[8:9]
	;; [unrolled: 1-line block ×4, first 2 shown]
	s_or_b64 s[16:17], vcc, s[16:17]
	v_mov_b32_e32 v35, v38
	s_andn2_b64 exec, exec, s[16:17]
	s_cbranch_execnz .LBB0_38
; %bb.39:
	s_or_b64 exec, exec, s[16:17]
.LBB0_40:
	s_or_b64 exec, exec, s[14:15]
	v_cmp_lt_i32_e64 s[6:7], -1, v31
	v_mov_b32_e32 v34, -1
	v_mov_b32_e32 v35, -1
	s_and_saveexec_b64 s[64:65], s[6:7]
	s_cbranch_execz .LBB0_42
; %bb.41:
	buffer_load_dword v34, off, s[0:3], 0 offset:244
	v_mov_b32_e32 v66, 0xa0
	v_lshlrev_b32_e32 v36, 3, v29
	v_lshlrev_b32_e32 v37, 3, v31
	v_mov_b32_e32 v30, v37
	v_cmp_eq_u32_e64 s[42:43], 1, v31
	v_cmp_eq_u32_e64 s[44:45], 2, v31
	v_cmp_eq_u32_e64 s[46:47], 3, v31
	v_cmp_eq_u32_e64 s[48:49], 4, v31
	v_cmp_eq_u32_e64 s[50:51], 5, v31
	v_cmp_eq_u32_e64 s[52:53], 6, v31
	v_cmp_eq_u32_e64 s[54:55], 7, v31
	v_cmp_eq_u32_e64 s[56:57], 8, v31
	v_cmp_eq_u32_e64 s[40:41], 1, v29
	v_cmp_eq_u32_e64 s[38:39], 2, v29
	v_cmp_eq_u32_e64 s[36:37], 3, v29
	v_cmp_eq_u32_e64 s[34:35], 4, v29
	v_cmp_eq_u32_e64 s[30:31], 5, v29
	v_cmp_eq_u32_e64 s[28:29], 6, v29
	v_cmp_eq_u32_e64 s[26:27], 7, v29
	v_cmp_eq_u32_e64 s[24:25], 8, v29
	v_cndmask_b32_e64 v29, v61, v81, s[40:41]
	v_cndmask_b32_e64 v29, v29, v79, s[38:39]
	;; [unrolled: 1-line block ×7, first 2 shown]
	s_waitcnt vmcnt(0)
	v_lshl_add_u32 v27, v34, 2, v66
	buffer_load_dword v35, v27, s[0:3], 0 offen offset:40
	v_mov_b32_e32 v27, v36
	buffer_load_dword v38, v27, s[0:3], 0 offen
	buffer_load_dword v39, v27, s[0:3], 0 offen offset:4
	buffer_load_dword v51, v30, s[0:3], 0 offen
	buffer_load_dword v52, v30, s[0:3], 0 offen offset:4
	v_cndmask_b32_e64 v30, v62, v82, s[42:43]
	v_cndmask_b32_e64 v30, v30, v80, s[44:45]
	;; [unrolled: 1-line block ×7, first 2 shown]
	v_cmp_eq_u32_e64 s[16:17], 3, v34
	v_cmp_eq_u32_e64 s[22:23], 0, v34
	;; [unrolled: 1-line block ×7, first 2 shown]
	s_waitcnt vmcnt(2)
	v_add_f64 v[27:28], -v[38:39], 0
	s_waitcnt vmcnt(0)
	v_add_f64 v[41:42], v[51:52], -v[38:39]
	v_div_scale_f64 v[43:44], s[8:9], v[41:42], v[41:42], v[27:28]
	v_cmp_eq_u32_e64 s[8:9], 7, v34
	v_rcp_f64_e32 v[45:46], v[43:44]
	v_fma_f64 v[47:48], -v[43:44], v[45:46], 1.0
	v_fma_f64 v[45:46], v[45:46], v[47:48], v[45:46]
	v_fma_f64 v[47:48], -v[43:44], v[45:46], 1.0
	v_fma_f64 v[45:46], v[45:46], v[47:48], v[45:46]
	v_div_scale_f64 v[47:48], vcc, v[27:28], v[41:42], v[27:28]
	v_mul_f64 v[49:50], v[47:48], v[45:46]
	v_fma_f64 v[43:44], -v[43:44], v[49:50], v[47:48]
	s_nop 1
	v_div_fmas_f64 v[43:44], v[43:44], v[45:46], v[49:50]
	v_cmp_eq_u32_e32 vcc, 8, v34
	v_div_fixup_f64 v[27:28], v[43:44], v[41:42], v[27:28]
	v_cndmask_b32_e64 v42, v30, v83, s[56:57]
	v_cndmask_b32_e64 v30, v61, v81, s[42:43]
	;; [unrolled: 1-line block ×18, first 2 shown]
	v_add_f64 v[29:30], -v[27:28], 1.0
	v_mul_f64 v[43:44], v[43:44], v[29:30]
	v_fma_f64 v[67:68], v[41:42], v[27:28], v[43:44]
	v_cndmask_b32_e64 v44, v19, v67, s[16:17]
	v_cndmask_b32_e64 v41, v61, v67, s[22:23]
	;; [unrolled: 1-line block ×3, first 2 shown]
	v_mul_f64 v[19:20], v[38:39], v[29:30]
	v_cndmask_b32_e64 v45, v21, v67, s[14:15]
	v_cndmask_b32_e64 v65, v22, v68, s[14:15]
	v_cndmask_b32_e32 v49, v60, v67, vcc
	v_cndmask_b32_e64 v48, v63, v67, s[8:9]
	v_cndmask_b32_e64 v47, v64, v67, s[10:11]
	;; [unrolled: 1-line block ×4, first 2 shown]
	v_fma_f64 v[20:21], v[51:52], v[27:28], v[19:20]
	v_lshlrev_b32_e32 v19, 3, v34
	v_mov_b32_e32 v22, v19
	buffer_store_dword v21, v22, s[0:3], 0 offen offset:4
	buffer_store_dword v20, v22, s[0:3], 0 offen
	v_add_u32_e32 v21, 0x50, v37
	v_add_u32_e32 v22, 0x50, v36
	buffer_load_dword v20, v21, s[0:3], 0 offen
	s_nop 0
	buffer_load_dword v21, v21, s[0:3], 0 offen offset:4
	s_nop 0
	buffer_load_dword v36, v22, s[0:3], 0 offen
	buffer_load_dword v37, v22, s[0:3], 0 offen offset:4
	v_add_u32_e32 v19, 0x50, v19
	v_cndmask_b32_e64 v42, v81, v67, s[20:21]
	v_cndmask_b32_e64 v63, v75, v68, s[8:9]
	v_cndmask_b32_e32 v60, v83, v68, vcc
	v_cndmask_b32_e64 v64, v76, v68, s[10:11]
	v_cndmask_b32_e64 v59, v59, v68, s[12:13]
	;; [unrolled: 1-line block ×5, first 2 shown]
	s_waitcnt vmcnt(0)
	v_mul_f64 v[36:37], v[29:30], v[36:37]
	v_fma_f64 v[20:21], v[27:28], v[20:21], v[36:37]
	buffer_store_dword v21, v19, s[0:3], 0 offen offset:4
	buffer_store_dword v20, v19, s[0:3], 0 offen
	v_cndmask_b32_e64 v21, v2, v4, s[40:41]
	v_cndmask_b32_e64 v21, v21, v6, s[38:39]
	;; [unrolled: 1-line block ×25, first 2 shown]
	v_mul_f64 v[21:22], v[21:22], v[29:30]
	v_cndmask_b32_e64 v19, v19, v5, s[44:45]
	v_cndmask_b32_e64 v19, v19, v7, s[46:47]
	;; [unrolled: 1-line block ×7, first 2 shown]
	v_fma_f64 v[19:20], v[19:20], v[27:28], v[21:22]
	v_cmp_eq_u32_e64 s[42:43], 1, v33
	v_cmp_eq_u32_e64 s[44:45], 2, v33
	;; [unrolled: 1-line block ×7, first 2 shown]
	v_cndmask_b32_e64 v27, v1, v19, s[22:23]
	v_lshl_add_u32 v1, v35, 2, v66
	buffer_load_dword v1, v1, s[0:3], 0 offen offset:40
	v_cndmask_b32_e64 v30, v7, v19, s[16:17]
	v_cndmask_b32_e64 v38, v6, v20, s[18:19]
	v_lshlrev_b32_e32 v6, 3, v40
	v_lshlrev_b32_e32 v7, 3, v33
	v_cndmask_b32_e64 v28, v3, v19, s[20:21]
	v_mov_b32_e32 v3, v7
	v_cndmask_b32_e64 v37, v4, v20, s[20:21]
	v_cndmask_b32_e64 v36, v2, v20, s[22:23]
	v_cndmask_b32_e32 v17, v17, v19, vcc
	v_cndmask_b32_e64 v15, v15, v19, s[8:9]
	v_cndmask_b32_e64 v13, v13, v19, s[10:11]
	;; [unrolled: 1-line block ×5, first 2 shown]
	v_cndmask_b32_e32 v18, v18, v20, vcc
	v_cndmask_b32_e64 v16, v16, v20, s[8:9]
	v_cndmask_b32_e64 v14, v14, v20, s[10:11]
	;; [unrolled: 1-line block ×5, first 2 shown]
	v_cmp_eq_u32_e64 s[56:57], 8, v33
	v_cmp_eq_u32_e64 s[40:41], 1, v40
	;; [unrolled: 1-line block ×11, first 2 shown]
	v_lshlrev_b32_e32 v5, 3, v35
	v_mov_b32_e32 v8, v5
	v_add_u32_e32 v7, 0x50, v7
	v_add_u32_e32 v5, 0x50, v5
	v_cmp_eq_u32_e64 s[10:11], 6, v35
	v_cmp_eq_u32_e64 s[12:13], 5, v35
	;; [unrolled: 1-line block ×5, first 2 shown]
	s_waitcnt vmcnt(0)
	buffer_store_dword v1, off, s[0:3], 0 offset:244
	v_mov_b32_e32 v1, v6
	buffer_load_dword v52, v1, s[0:3], 0 offen offset:4
	buffer_load_dword v51, v1, s[0:3], 0 offen
	buffer_load_dword v67, v3, s[0:3], 0 offen offset:4
	buffer_load_dword v66, v3, s[0:3], 0 offen
	v_add_u32_e32 v6, 0x50, v6
	s_waitcnt vmcnt(2)
	v_add_f64 v[1:2], -v[51:52], 0
	s_waitcnt vmcnt(0)
	v_add_f64 v[3:4], v[66:67], -v[51:52]
	v_div_scale_f64 v[19:20], s[8:9], v[3:4], v[3:4], v[1:2]
	v_cmp_eq_u32_e64 s[8:9], 7, v35
	v_rcp_f64_e32 v[21:22], v[19:20]
	v_fma_f64 v[68:69], -v[19:20], v[21:22], 1.0
	v_fma_f64 v[21:22], v[21:22], v[68:69], v[21:22]
	v_fma_f64 v[68:69], -v[19:20], v[21:22], 1.0
	v_fma_f64 v[21:22], v[21:22], v[68:69], v[21:22]
	v_div_scale_f64 v[68:69], vcc, v[1:2], v[3:4], v[1:2]
	v_mul_f64 v[70:71], v[68:69], v[21:22]
	v_fma_f64 v[19:20], -v[19:20], v[70:71], v[68:69]
	s_nop 1
	v_div_fmas_f64 v[19:20], v[19:20], v[21:22], v[70:71]
	v_cmp_eq_u32_e32 vcc, 8, v35
	v_div_fixup_f64 v[1:2], v[19:20], v[3:4], v[1:2]
	v_cndmask_b32_e64 v3, v50, v53, s[42:43]
	v_cndmask_b32_e64 v3, v3, v54, s[44:45]
	v_cndmask_b32_e64 v3, v3, v61, s[46:47]
	v_cndmask_b32_e64 v3, v3, v65, s[48:49]
	v_cndmask_b32_e64 v3, v3, v59, s[50:51]
	v_cndmask_b32_e64 v3, v3, v64, s[52:53]
	v_cndmask_b32_e64 v3, v3, v63, s[54:55]
	v_cndmask_b32_e64 v20, v3, v60, s[56:57]
	v_cndmask_b32_e64 v3, v41, v42, s[42:43]
	v_cndmask_b32_e64 v3, v3, v43, s[44:45]
	v_cndmask_b32_e64 v3, v3, v44, s[46:47]
	v_cndmask_b32_e64 v3, v3, v45, s[48:49]
	v_cndmask_b32_e64 v3, v3, v46, s[50:51]
	v_cndmask_b32_e64 v3, v3, v47, s[52:53]
	v_cndmask_b32_e64 v3, v3, v48, s[54:55]
	v_cndmask_b32_e64 v19, v3, v49, s[56:57]
	v_cndmask_b32_e64 v3, v50, v53, s[40:41]
	v_cndmask_b32_e64 v3, v3, v54, s[38:39]
	v_cndmask_b32_e64 v3, v3, v61, s[36:37]
	v_cndmask_b32_e64 v3, v3, v65, s[34:35]
	v_cndmask_b32_e64 v3, v3, v59, s[30:31]
	v_cndmask_b32_e64 v3, v3, v64, s[28:29]
	v_cndmask_b32_e64 v3, v3, v63, s[26:27]
	v_cndmask_b32_e64 v22, v3, v60, s[24:25]
	v_cndmask_b32_e64 v3, v41, v42, s[40:41]
	v_cndmask_b32_e64 v3, v3, v43, s[38:39]
	v_cndmask_b32_e64 v3, v3, v44, s[36:37]
	v_cndmask_b32_e64 v3, v3, v45, s[34:35]
	v_cndmask_b32_e64 v3, v3, v46, s[30:31]
	v_cndmask_b32_e64 v3, v3, v47, s[28:29]
	v_cndmask_b32_e64 v3, v3, v48, s[26:27]
	v_cndmask_b32_e64 v21, v3, v49, s[24:25]
	v_add_f64 v[3:4], -v[1:2], 1.0
	v_mul_f64 v[21:22], v[21:22], v[3:4]
	v_fma_f64 v[70:71], v[19:20], v[1:2], v[21:22]
	v_cndmask_b32_e64 v20, v61, v71, s[16:17]
	v_cndmask_b32_e64 v61, v41, v70, s[22:23]
	v_mul_f64 v[40:41], v[51:52], v[3:4]
	v_cndmask_b32_e32 v83, v60, v71, vcc
	v_cndmask_b32_e32 v60, v49, v70, vcc
	v_cndmask_b32_e64 v75, v63, v71, s[8:9]
	v_cndmask_b32_e64 v63, v48, v70, s[8:9]
	;; [unrolled: 1-line block ×5, first 2 shown]
	v_fma_f64 v[40:41], v[66:67], v[1:2], v[40:41]
	buffer_store_dword v40, v8, s[0:3], 0 offen
	buffer_store_dword v41, v8, s[0:3], 0 offen offset:4
	buffer_load_dword v8, v7, s[0:3], 0 offen offset:4
	s_nop 0
	buffer_load_dword v7, v7, s[0:3], 0 offen
	s_nop 0
	buffer_load_dword v41, v6, s[0:3], 0 offen offset:4
	buffer_load_dword v40, v6, s[0:3], 0 offen
	v_cndmask_b32_e64 v69, v46, v70, s[12:13]
	v_cndmask_b32_e64 v22, v65, v71, s[14:15]
	;; [unrolled: 1-line block ×9, first 2 shown]
	s_waitcnt vmcnt(0)
	v_mul_f64 v[40:41], v[3:4], v[40:41]
	v_fma_f64 v[6:7], v[1:2], v[7:8], v[40:41]
	buffer_store_dword v6, v5, s[0:3], 0 offen
	buffer_store_dword v7, v5, s[0:3], 0 offen offset:4
	v_cndmask_b32_e64 v7, v36, v37, s[40:41]
	v_cndmask_b32_e64 v7, v7, v38, s[38:39]
	;; [unrolled: 1-line block ×25, first 2 shown]
	v_mul_f64 v[3:4], v[7:8], v[3:4]
	v_cndmask_b32_e64 v5, v5, v29, s[44:45]
	v_cndmask_b32_e64 v5, v5, v30, s[46:47]
	;; [unrolled: 1-line block ×7, first 2 shown]
	v_fma_f64 v[1:2], v[5:6], v[1:2], v[3:4]
	v_cndmask_b32_e32 v18, v18, v2, vcc
	v_cndmask_b32_e32 v17, v17, v1, vcc
	v_cndmask_b32_e64 v16, v16, v2, s[8:9]
	v_cndmask_b32_e64 v15, v15, v1, s[8:9]
	;; [unrolled: 1-line block ×16, first 2 shown]
.LBB0_42:
	s_or_b64 exec, exec, s[64:65]
	v_mov_b32_e32 v27, -1
	buffer_store_dword v27, off, s[0:3], 0 offset:240
	s_and_saveexec_b64 s[8:9], s[4:5]
	s_cbranch_execz .LBB0_51
; %bb.43:
	s_mov_b64 s[4:5], 0
	v_mov_b32_e32 v27, 0xa0
	v_mov_b32_e32 v28, 0
	s_branch .LBB0_45
.LBB0_44:                               ;   in Loop: Header=BB0_45 Depth=1
	s_or_b64 exec, exec, s[12:13]
	s_waitcnt vmcnt(0)
	v_cmp_gt_i32_e32 vcc, 0, v29
	s_or_b64 s[4:5], vcc, s[4:5]
	v_mov_b32_e32 v32, v29
	s_andn2_b64 exec, exec, s[4:5]
	s_cbranch_execz .LBB0_51
.LBB0_45:                               ; =>This Inner Loop Header: Depth=1
	v_lshl_add_u32 v29, v32, 3, v28
	buffer_load_dword v36, v29, s[0:3], 0 offen
	buffer_load_dword v37, v29, s[0:3], 0 offen offset:4
	v_lshl_add_u32 v30, v32, 2, v27
	buffer_load_dword v29, v30, s[0:3], 0 offen offset:40
	s_mov_b64 s[10:11], 0
	s_waitcnt vmcnt(1)
	v_cmp_ngt_f64_e32 vcc, 0, v[36:37]
	s_and_saveexec_b64 s[12:13], vcc
	s_xor_b64 s[12:13], exec, s[12:13]
	s_cbranch_execnz .LBB0_48
; %bb.46:                               ;   in Loop: Header=BB0_45 Depth=1
	s_or_saveexec_b64 s[12:13], s[12:13]
	v_mov_b32_e32 v36, 0xf0
	s_xor_b64 exec, exec, s[12:13]
	s_cbranch_execnz .LBB0_49
.LBB0_47:                               ;   in Loop: Header=BB0_45 Depth=1
	s_or_b64 exec, exec, s[12:13]
	s_and_saveexec_b64 s[12:13], s[10:11]
	s_cbranch_execz .LBB0_44
	s_branch .LBB0_50
.LBB0_48:                               ;   in Loop: Header=BB0_45 Depth=1
	buffer_load_dword v30, off, s[0:3], 0 offset:240
	s_waitcnt vmcnt(0)
	v_cmp_eq_u32_e32 vcc, -1, v30
	s_and_b64 s[10:11], vcc, exec
                                        ; implicit-def: $vgpr30
	s_or_saveexec_b64 s[12:13], s[12:13]
	v_mov_b32_e32 v36, 0xf0
	s_xor_b64 exec, exec, s[12:13]
	s_cbranch_execz .LBB0_47
.LBB0_49:                               ;   in Loop: Header=BB0_45 Depth=1
	buffer_load_dword v37, off, s[0:3], 0 offset:244
	v_mov_b32_e32 v36, 0xf4
	s_or_b64 s[10:11], s[10:11], exec
	s_waitcnt vmcnt(0)
	buffer_store_dword v37, v30, s[0:3], 0 offen offset:40
	s_or_b64 exec, exec, s[12:13]
	s_and_saveexec_b64 s[12:13], s[10:11]
	s_cbranch_execz .LBB0_44
.LBB0_50:                               ;   in Loop: Header=BB0_45 Depth=1
	buffer_store_dword v32, v36, s[0:3], 0 offen
	s_branch .LBB0_44
.LBB0_51:
	s_or_b64 exec, exec, s[8:9]
	s_and_saveexec_b64 s[4:5], s[6:7]
	s_cbranch_execz .LBB0_53
; %bb.52:
	v_max_f64 v[23:24], v[23:24], v[23:24]
	v_max_f64 v[25:26], v[25:26], v[25:26]
	v_min_f64 v[23:24], v[25:26], v[23:24]
	v_mov_b32_e32 v25, 0xa0
	v_lshl_add_u32 v26, v31, 2, v25
	v_lshl_add_u32 v27, v34, 2, v25
	;; [unrolled: 1-line block ×3, first 2 shown]
	buffer_store_dword v34, v26, s[0:3], 0 offen offset:40
	v_cmp_ngt_f64_e32 vcc, 0, v[23:24]
	v_cndmask_b32_e32 v23, -1, v33, vcc
	buffer_store_dword v35, v27, s[0:3], 0 offen offset:40
	buffer_store_dword v23, v25, s[0:3], 0 offen offset:40
.LBB0_53:
	s_or_b64 exec, exec, s[4:5]
	buffer_load_dword v36, off, s[0:3], 0 offset:240
	v_mov_b32_e32 v23, 0
	v_mov_b32_e32 v24, 0
	s_waitcnt vmcnt(0)
	v_cmp_lt_i32_e64 s[4:5], -1, v36
	s_and_saveexec_b64 s[6:7], s[4:5]
	s_cbranch_execz .LBB0_55
; %bb.54:
	v_mov_b32_e32 v23, 0x50
	v_lshl_add_u32 v24, v36, 3, v23
	buffer_load_dword v23, v24, s[0:3], 0 offen
	s_nop 0
	buffer_load_dword v24, v24, s[0:3], 0 offen offset:4
.LBB0_55:
	s_or_b64 exec, exec, s[6:7]
	s_waitcnt vmcnt(0)
	v_mov_b32_e32 v26, v24
	v_mov_b32_e32 v35, -1
	v_mov_b32_e32 v40, -1
	;; [unrolled: 1-line block ×3, first 2 shown]
	v_mov_b32_e32 v25, v23
	v_mov_b32_e32 v37, -1
	s_and_saveexec_b64 s[14:15], s[4:5]
	s_cbranch_execz .LBB0_59
; %bb.56:
	v_mov_b32_e32 v28, v24
	v_mov_b32_e32 v35, -1
	s_mov_b64 s[16:17], 0
	v_mov_b32_e32 v30, 0xa0
	v_mov_b32_e32 v31, 0x50
	;; [unrolled: 1-line block ×3, first 2 shown]
	v_mov_b32_e32 v40, -1
	v_mov_b32_e32 v29, -1
	;; [unrolled: 1-line block ×3, first 2 shown]
	v_mov_b32_e32 v27, v23
.LBB0_57:                               ; =>This Inner Loop Header: Depth=1
	v_lshl_add_u32 v25, v32, 2, v30
	buffer_load_dword v38, v25, s[0:3], 0 offen offset:40
	s_waitcnt vmcnt(0)
	v_cmp_gt_i32_e32 vcc, 0, v38
	v_cndmask_b32_e32 v39, v38, v36, vcc
	v_lshl_add_u32 v25, v39, 3, v31
	buffer_load_dword v33, v25, s[0:3], 0 offen
	buffer_load_dword v34, v25, s[0:3], 0 offen offset:4
	v_mov_b32_e32 v25, v27
	v_mov_b32_e32 v26, v28
	v_cmp_le_f64_e64 s[6:7], 0, v[25:26]
	v_cmp_gt_f64_e64 s[10:11], 0, v[25:26]
	s_waitcnt vmcnt(0)
	v_cmp_gt_f64_e64 s[8:9], 0, v[33:34]
	v_cmp_le_f64_e64 s[12:13], 0, v[33:34]
	v_mov_b32_e32 v27, v33
	v_mov_b32_e32 v28, v34
	s_and_b64 s[6:7], s[6:7], s[8:9]
	s_and_b64 s[8:9], s[10:11], s[12:13]
	v_cndmask_b32_e64 v29, v29, v39, s[6:7]
	v_cndmask_b32_e64 v37, v37, v39, s[8:9]
	;; [unrolled: 1-line block ×4, first 2 shown]
	s_or_b64 s[16:17], vcc, s[16:17]
	v_mov_b32_e32 v32, v38
	s_andn2_b64 exec, exec, s[16:17]
	s_cbranch_execnz .LBB0_57
; %bb.58:
	s_or_b64 exec, exec, s[16:17]
.LBB0_59:
	s_or_b64 exec, exec, s[14:15]
	v_cmp_lt_i32_e64 s[6:7], -1, v35
	v_mov_b32_e32 v38, -1
	v_mov_b32_e32 v39, -1
	s_and_saveexec_b64 s[64:65], s[6:7]
	s_cbranch_execz .LBB0_61
; %bb.60:
	buffer_load_dword v38, off, s[0:3], 0 offset:244
	v_mov_b32_e32 v66, 0xa0
	v_lshlrev_b32_e32 v51, 3, v29
	v_lshlrev_b32_e32 v52, 3, v35
	v_add_u32_e32 v30, 0x50, v52
	v_cmp_eq_u32_e64 s[42:43], 1, v35
	v_cmp_eq_u32_e64 s[44:45], 2, v35
	;; [unrolled: 1-line block ×16, first 2 shown]
	v_cndmask_b32_e64 v29, v61, v81, s[40:41]
	v_cndmask_b32_e64 v29, v29, v79, s[38:39]
	;; [unrolled: 1-line block ×7, first 2 shown]
	s_waitcnt vmcnt(0)
	v_lshl_add_u32 v27, v38, 2, v66
	buffer_load_dword v39, v27, s[0:3], 0 offen offset:40
	v_add_u32_e32 v27, 0x50, v51
	buffer_load_dword v31, v27, s[0:3], 0 offen
	buffer_load_dword v32, v27, s[0:3], 0 offen offset:4
	buffer_load_dword v33, v30, s[0:3], 0 offen
	buffer_load_dword v34, v30, s[0:3], 0 offen offset:4
	v_cndmask_b32_e64 v30, v62, v82, s[42:43]
	v_cndmask_b32_e64 v30, v30, v80, s[44:45]
	;; [unrolled: 1-line block ×7, first 2 shown]
	v_cmp_eq_u32_e64 s[14:15], 4, v38
	v_cmp_eq_u32_e64 s[16:17], 3, v38
	;; [unrolled: 1-line block ×7, first 2 shown]
	s_waitcnt vmcnt(2)
	v_add_f64 v[27:28], -v[31:32], 0
	s_waitcnt vmcnt(0)
	v_add_f64 v[41:42], v[33:34], -v[31:32]
	v_div_scale_f64 v[43:44], s[8:9], v[41:42], v[41:42], v[27:28]
	v_cmp_eq_u32_e64 s[8:9], 7, v38
	v_rcp_f64_e32 v[45:46], v[43:44]
	v_fma_f64 v[47:48], -v[43:44], v[45:46], 1.0
	v_fma_f64 v[45:46], v[45:46], v[47:48], v[45:46]
	v_fma_f64 v[47:48], -v[43:44], v[45:46], 1.0
	v_fma_f64 v[45:46], v[45:46], v[47:48], v[45:46]
	v_div_scale_f64 v[47:48], vcc, v[27:28], v[41:42], v[27:28]
	v_mul_f64 v[49:50], v[47:48], v[45:46]
	v_fma_f64 v[43:44], -v[43:44], v[49:50], v[47:48]
	s_nop 1
	v_div_fmas_f64 v[43:44], v[43:44], v[45:46], v[49:50]
	v_cmp_eq_u32_e32 vcc, 8, v38
	v_div_fixup_f64 v[27:28], v[43:44], v[41:42], v[27:28]
	v_cndmask_b32_e64 v42, v30, v83, s[56:57]
	v_cndmask_b32_e64 v30, v61, v81, s[42:43]
	;; [unrolled: 1-line block ×18, first 2 shown]
	v_add_f64 v[29:30], -v[27:28], 1.0
	v_mul_f64 v[43:44], v[43:44], v[29:30]
	v_fma_f64 v[67:68], v[41:42], v[27:28], v[43:44]
	v_cndmask_b32_e64 v41, v61, v67, s[22:23]
	v_cndmask_b32_e64 v65, v22, v68, s[14:15]
	;; [unrolled: 1-line block ×3, first 2 shown]
	v_mov_b32_e32 v20, v52
	v_mov_b32_e32 v22, v51
	v_cndmask_b32_e64 v45, v21, v67, s[14:15]
	v_cndmask_b32_e64 v44, v19, v67, s[16:17]
	buffer_load_dword v19, v20, s[0:3], 0 offen
	s_nop 0
	buffer_load_dword v20, v20, s[0:3], 0 offen offset:4
	s_nop 0
	buffer_load_dword v21, v22, s[0:3], 0 offen
	s_nop 0
	buffer_load_dword v22, v22, s[0:3], 0 offen offset:4
	v_lshlrev_b32_e32 v51, 3, v40
	v_lshlrev_b32_e32 v52, 3, v37
	v_cndmask_b32_e64 v48, v63, v67, s[8:9]
	v_cndmask_b32_e64 v63, v75, v68, s[8:9]
	v_cndmask_b32_e32 v49, v60, v67, vcc
	v_cndmask_b32_e64 v47, v64, v67, s[10:11]
	v_cndmask_b32_e64 v46, v69, v67, s[12:13]
	;; [unrolled: 1-line block ×4, first 2 shown]
	v_cndmask_b32_e32 v60, v83, v68, vcc
	v_cndmask_b32_e64 v64, v76, v68, s[10:11]
	v_cndmask_b32_e64 v59, v59, v68, s[12:13]
	;; [unrolled: 1-line block ×5, first 2 shown]
	s_waitcnt vmcnt(0)
	v_mul_f64 v[21:22], v[29:30], v[21:22]
	v_fma_f64 v[19:20], v[27:28], v[19:20], v[21:22]
	v_lshlrev_b32_e32 v21, 3, v38
	v_mov_b32_e32 v22, v21
	buffer_store_dword v20, v22, s[0:3], 0 offen offset:4
	buffer_store_dword v19, v22, s[0:3], 0 offen
	v_mul_f64 v[19:20], v[31:32], v[29:30]
	v_add_u32_e32 v21, 0x50, v21
	v_fma_f64 v[19:20], v[33:34], v[27:28], v[19:20]
	buffer_store_dword v20, v21, s[0:3], 0 offen offset:4
	buffer_store_dword v19, v21, s[0:3], 0 offen
	v_cndmask_b32_e64 v21, v2, v4, s[40:41]
	v_cndmask_b32_e64 v21, v21, v6, s[38:39]
	;; [unrolled: 1-line block ×25, first 2 shown]
	v_mul_f64 v[21:22], v[21:22], v[29:30]
	v_cndmask_b32_e64 v19, v19, v5, s[44:45]
	v_cndmask_b32_e64 v19, v19, v7, s[46:47]
	;; [unrolled: 1-line block ×7, first 2 shown]
	v_fma_f64 v[19:20], v[19:20], v[27:28], v[21:22]
	v_cmp_eq_u32_e64 s[42:43], 1, v37
	v_cmp_eq_u32_e64 s[44:45], 2, v37
	;; [unrolled: 1-line block ×7, first 2 shown]
	v_cndmask_b32_e64 v27, v1, v19, s[22:23]
	v_lshl_add_u32 v1, v39, 2, v66
	buffer_load_dword v1, v1, s[0:3], 0 offen offset:40
	v_cndmask_b32_e64 v28, v3, v19, s[20:21]
	v_add_u32_e32 v3, 0x50, v52
	v_cndmask_b32_e64 v30, v7, v19, s[16:17]
	v_cndmask_b32_e64 v29, v5, v19, s[18:19]
	;; [unrolled: 1-line block ×6, first 2 shown]
	v_cndmask_b32_e32 v17, v17, v19, vcc
	v_cndmask_b32_e64 v15, v15, v19, s[8:9]
	v_cndmask_b32_e64 v13, v13, v19, s[10:11]
	;; [unrolled: 1-line block ×4, first 2 shown]
	v_cndmask_b32_e32 v18, v18, v20, vcc
	v_cndmask_b32_e64 v16, v16, v20, s[8:9]
	v_cndmask_b32_e64 v14, v14, v20, s[10:11]
	;; [unrolled: 1-line block ×4, first 2 shown]
	v_cmp_eq_u32_e64 s[56:57], 8, v37
	v_cmp_eq_u32_e64 s[40:41], 1, v40
	;; [unrolled: 1-line block ×13, first 2 shown]
	v_mov_b32_e32 v40, v52
	v_cmp_eq_u32_e64 s[10:11], 6, v39
	v_cmp_eq_u32_e64 s[12:13], 5, v39
	;; [unrolled: 1-line block ×3, first 2 shown]
	s_waitcnt vmcnt(0)
	buffer_store_dword v1, off, s[0:3], 0 offset:244
	v_add_u32_e32 v1, 0x50, v51
	buffer_load_dword v6, v1, s[0:3], 0 offen offset:4
	buffer_load_dword v5, v1, s[0:3], 0 offen
	buffer_load_dword v8, v3, s[0:3], 0 offen offset:4
	buffer_load_dword v7, v3, s[0:3], 0 offen
	s_waitcnt vmcnt(2)
	v_add_f64 v[1:2], -v[5:6], 0
	s_waitcnt vmcnt(0)
	v_add_f64 v[3:4], v[7:8], -v[5:6]
	v_div_scale_f64 v[19:20], s[8:9], v[3:4], v[3:4], v[1:2]
	v_cmp_eq_u32_e64 s[8:9], 7, v39
	v_rcp_f64_e32 v[21:22], v[19:20]
	v_fma_f64 v[66:67], -v[19:20], v[21:22], 1.0
	v_fma_f64 v[21:22], v[21:22], v[66:67], v[21:22]
	v_fma_f64 v[66:67], -v[19:20], v[21:22], 1.0
	v_fma_f64 v[21:22], v[21:22], v[66:67], v[21:22]
	v_div_scale_f64 v[66:67], vcc, v[1:2], v[3:4], v[1:2]
	v_mul_f64 v[68:69], v[66:67], v[21:22]
	v_fma_f64 v[19:20], -v[19:20], v[68:69], v[66:67]
	s_nop 1
	v_div_fmas_f64 v[19:20], v[19:20], v[21:22], v[68:69]
	v_cmp_eq_u32_e32 vcc, 8, v39
	v_div_fixup_f64 v[1:2], v[19:20], v[3:4], v[1:2]
	v_cndmask_b32_e64 v3, v50, v53, s[42:43]
	v_cndmask_b32_e64 v3, v3, v54, s[44:45]
	v_cndmask_b32_e64 v3, v3, v61, s[46:47]
	v_cndmask_b32_e64 v3, v3, v65, s[48:49]
	v_cndmask_b32_e64 v3, v3, v59, s[50:51]
	v_cndmask_b32_e64 v3, v3, v64, s[52:53]
	v_cndmask_b32_e64 v3, v3, v63, s[54:55]
	v_cndmask_b32_e64 v20, v3, v60, s[56:57]
	v_cndmask_b32_e64 v3, v41, v42, s[42:43]
	v_cndmask_b32_e64 v3, v3, v43, s[44:45]
	v_cndmask_b32_e64 v3, v3, v44, s[46:47]
	v_cndmask_b32_e64 v3, v3, v45, s[48:49]
	v_cndmask_b32_e64 v3, v3, v46, s[50:51]
	v_cndmask_b32_e64 v3, v3, v47, s[52:53]
	v_cndmask_b32_e64 v3, v3, v48, s[54:55]
	v_cndmask_b32_e64 v19, v3, v49, s[56:57]
	v_cndmask_b32_e64 v3, v50, v53, s[40:41]
	v_cndmask_b32_e64 v3, v3, v54, s[38:39]
	v_cndmask_b32_e64 v3, v3, v61, s[36:37]
	v_cndmask_b32_e64 v3, v3, v65, s[34:35]
	v_cndmask_b32_e64 v3, v3, v59, s[30:31]
	v_cndmask_b32_e64 v3, v3, v64, s[28:29]
	v_cndmask_b32_e64 v3, v3, v63, s[26:27]
	v_cndmask_b32_e64 v22, v3, v60, s[24:25]
	v_cndmask_b32_e64 v3, v41, v42, s[40:41]
	v_cndmask_b32_e64 v3, v3, v43, s[38:39]
	v_cndmask_b32_e64 v3, v3, v44, s[36:37]
	v_cndmask_b32_e64 v3, v3, v45, s[34:35]
	v_cndmask_b32_e64 v3, v3, v46, s[30:31]
	v_cndmask_b32_e64 v3, v3, v47, s[28:29]
	v_cndmask_b32_e64 v3, v3, v48, s[26:27]
	v_cndmask_b32_e64 v21, v3, v49, s[24:25]
	v_add_f64 v[3:4], -v[1:2], 1.0
	v_mul_f64 v[21:22], v[21:22], v[3:4]
	v_mul_f64 v[5:6], v[5:6], v[3:4]
	v_fma_f64 v[66:67], v[19:20], v[1:2], v[21:22]
	v_fma_f64 v[5:6], v[7:8], v[1:2], v[5:6]
	v_cndmask_b32_e64 v81, v42, v66, s[20:21]
	v_mov_b32_e32 v42, v51
	v_cndmask_b32_e64 v20, v61, v67, s[16:17]
	v_cndmask_b32_e64 v79, v43, v66, s[18:19]
	;; [unrolled: 1-line block ×3, first 2 shown]
	buffer_load_dword v41, v40, s[0:3], 0 offen offset:4
	s_nop 0
	buffer_load_dword v40, v40, s[0:3], 0 offen
	s_nop 0
	buffer_load_dword v43, v42, s[0:3], 0 offen offset:4
	s_nop 0
	buffer_load_dword v42, v42, s[0:3], 0 offen
	v_cndmask_b32_e32 v83, v60, v67, vcc
	v_cndmask_b32_e32 v60, v49, v66, vcc
	v_cndmask_b32_e64 v75, v63, v67, s[8:9]
	v_cndmask_b32_e64 v63, v48, v66, s[8:9]
	;; [unrolled: 1-line block ×12, first 2 shown]
	s_waitcnt vmcnt(0)
	v_mul_f64 v[42:43], v[3:4], v[42:43]
	v_fma_f64 v[40:41], v[1:2], v[40:41], v[42:43]
	v_lshlrev_b32_e32 v42, 3, v39
	v_mov_b32_e32 v43, v42
	v_add_u32_e32 v7, 0x50, v42
	buffer_store_dword v40, v43, s[0:3], 0 offen
	buffer_store_dword v41, v43, s[0:3], 0 offen offset:4
	buffer_store_dword v5, v7, s[0:3], 0 offen
	buffer_store_dword v6, v7, s[0:3], 0 offen offset:4
	v_cndmask_b32_e64 v7, v31, v32, s[40:41]
	v_cndmask_b32_e64 v7, v7, v33, s[38:39]
	;; [unrolled: 1-line block ×25, first 2 shown]
	v_mul_f64 v[3:4], v[7:8], v[3:4]
	v_cndmask_b32_e64 v5, v5, v29, s[44:45]
	v_cndmask_b32_e64 v5, v5, v30, s[46:47]
	;; [unrolled: 1-line block ×7, first 2 shown]
	v_fma_f64 v[1:2], v[5:6], v[1:2], v[3:4]
	v_cndmask_b32_e32 v18, v18, v2, vcc
	v_cndmask_b32_e32 v17, v17, v1, vcc
	v_cndmask_b32_e64 v16, v16, v2, s[8:9]
	v_cndmask_b32_e64 v15, v15, v1, s[8:9]
	v_cndmask_b32_e64 v14, v14, v2, s[10:11]
	v_cndmask_b32_e64 v13, v13, v1, s[10:11]
	v_cndmask_b32_e64 v12, v12, v2, s[12:13]
	v_cndmask_b32_e64 v11, v11, v1, s[12:13]
	v_cndmask_b32_e64 v10, v10, v2, s[14:15]
	v_cndmask_b32_e64 v9, v9, v1, s[14:15]
	v_cndmask_b32_e64 v8, v34, v2, s[16:17]
	v_cndmask_b32_e64 v7, v30, v1, s[16:17]
	v_cndmask_b32_e64 v6, v33, v2, s[18:19]
	v_cndmask_b32_e64 v5, v29, v1, s[18:19]
	v_cndmask_b32_e64 v4, v32, v2, s[20:21]
	v_cndmask_b32_e64 v3, v28, v1, s[20:21]
	v_cndmask_b32_e64 v2, v31, v2, s[22:23]
	v_cndmask_b32_e64 v1, v27, v1, s[22:23]
.LBB0_61:
	s_or_b64 exec, exec, s[64:65]
	v_mov_b32_e32 v27, -1
	buffer_store_dword v27, off, s[0:3], 0 offset:240
	s_and_saveexec_b64 s[8:9], s[4:5]
	s_cbranch_execz .LBB0_70
; %bb.62:
	s_mov_b64 s[4:5], 0
	v_mov_b32_e32 v27, 0xa0
	v_mov_b32_e32 v28, 0x50
	s_branch .LBB0_64
.LBB0_63:                               ;   in Loop: Header=BB0_64 Depth=1
	s_or_b64 exec, exec, s[12:13]
	s_waitcnt vmcnt(0)
	v_cmp_gt_i32_e32 vcc, 0, v29
	s_or_b64 s[4:5], vcc, s[4:5]
	v_mov_b32_e32 v36, v29
	s_andn2_b64 exec, exec, s[4:5]
	s_cbranch_execz .LBB0_70
.LBB0_64:                               ; =>This Inner Loop Header: Depth=1
	v_lshl_add_u32 v29, v36, 3, v28
	buffer_load_dword v31, v29, s[0:3], 0 offen
	buffer_load_dword v32, v29, s[0:3], 0 offen offset:4
	v_lshl_add_u32 v30, v36, 2, v27
	buffer_load_dword v29, v30, s[0:3], 0 offen offset:40
	s_mov_b64 s[10:11], 0
	s_waitcnt vmcnt(1)
	v_cmp_ngt_f64_e32 vcc, 0, v[31:32]
	s_and_saveexec_b64 s[12:13], vcc
	s_xor_b64 s[12:13], exec, s[12:13]
	s_cbranch_execnz .LBB0_67
; %bb.65:                               ;   in Loop: Header=BB0_64 Depth=1
	s_or_saveexec_b64 s[12:13], s[12:13]
	v_mov_b32_e32 v31, 0xf0
	s_xor_b64 exec, exec, s[12:13]
	s_cbranch_execnz .LBB0_68
.LBB0_66:                               ;   in Loop: Header=BB0_64 Depth=1
	s_or_b64 exec, exec, s[12:13]
	s_and_saveexec_b64 s[12:13], s[10:11]
	s_cbranch_execz .LBB0_63
	s_branch .LBB0_69
.LBB0_67:                               ;   in Loop: Header=BB0_64 Depth=1
	buffer_load_dword v30, off, s[0:3], 0 offset:240
	s_waitcnt vmcnt(0)
	v_cmp_eq_u32_e32 vcc, -1, v30
	s_and_b64 s[10:11], vcc, exec
                                        ; implicit-def: $vgpr30
	s_or_saveexec_b64 s[12:13], s[12:13]
	v_mov_b32_e32 v31, 0xf0
	s_xor_b64 exec, exec, s[12:13]
	s_cbranch_execz .LBB0_66
.LBB0_68:                               ;   in Loop: Header=BB0_64 Depth=1
	buffer_load_dword v32, off, s[0:3], 0 offset:244
	v_mov_b32_e32 v31, 0xf4
	s_or_b64 s[10:11], s[10:11], exec
	s_waitcnt vmcnt(0)
	buffer_store_dword v32, v30, s[0:3], 0 offen offset:40
	s_or_b64 exec, exec, s[12:13]
	s_and_saveexec_b64 s[12:13], s[10:11]
	s_cbranch_execz .LBB0_63
.LBB0_69:                               ;   in Loop: Header=BB0_64 Depth=1
	buffer_store_dword v36, v31, s[0:3], 0 offen
	s_branch .LBB0_63
.LBB0_70:
	s_or_b64 exec, exec, s[8:9]
	s_and_saveexec_b64 s[4:5], s[6:7]
	s_cbranch_execz .LBB0_72
; %bb.71:
	v_max_f64 v[23:24], v[23:24], v[23:24]
	v_max_f64 v[25:26], v[25:26], v[25:26]
	v_min_f64 v[23:24], v[25:26], v[23:24]
	v_mov_b32_e32 v25, 0xa0
	v_lshl_add_u32 v26, v35, 2, v25
	v_lshl_add_u32 v27, v38, 2, v25
	;; [unrolled: 1-line block ×3, first 2 shown]
	buffer_store_dword v38, v26, s[0:3], 0 offen offset:40
	v_cmp_ngt_f64_e32 vcc, 0, v[23:24]
	v_cndmask_b32_e32 v23, -1, v37, vcc
	buffer_store_dword v39, v27, s[0:3], 0 offen offset:40
	buffer_store_dword v23, v25, s[0:3], 0 offen offset:40
.LBB0_72:
	s_or_b64 exec, exec, s[4:5]
	buffer_load_dword v70, off, s[0:3], 0 offset:240
	buffer_load_dword v73, off, s[0:3], 0 offset:244
	;; [unrolled: 1-line block ×11, first 2 shown]
	v_mov_b32_e32 v35, -1
	s_mov_b64 s[42:43], 0
	v_mov_b32_e32 v38, -1
	v_mov_b32_e32 v39, -1
	;; [unrolled: 1-line block ×3, first 2 shown]
	s_waitcnt vmcnt(10)
	buffer_store_dword v70, off, s[0:3], 0 offset:248
	s_waitcnt vmcnt(10)
	buffer_store_dword v73, off, s[0:3], 0 offset:252
	;; [unrolled: 2-line block ×11, first 2 shown]
	v_cmp_eq_u32_e32 vcc, 1, v70
	v_cndmask_b32_e32 v23, v2, v4, vcc
	v_cmp_eq_u32_e64 s[6:7], 2, v70
	v_cndmask_b32_e64 v23, v23, v6, s[6:7]
	v_cndmask_b32_e32 v24, v1, v3, vcc
	v_cmp_eq_u32_e32 vcc, 3, v70
	v_cndmask_b32_e32 v23, v23, v8, vcc
	v_cndmask_b32_e64 v24, v24, v5, s[6:7]
	v_cmp_eq_u32_e64 s[6:7], 4, v70
	v_cndmask_b32_e64 v23, v23, v10, s[6:7]
	v_cndmask_b32_e32 v24, v24, v7, vcc
	v_cmp_eq_u32_e32 vcc, 5, v70
	v_cndmask_b32_e32 v23, v23, v12, vcc
	v_cndmask_b32_e64 v24, v24, v9, s[6:7]
	;; [unrolled: 6-line block ×3, first 2 shown]
	v_cmp_eq_u32_e64 s[6:7], 8, v70
	v_cndmask_b32_e64 v24, v23, v18, s[6:7]
	v_cndmask_b32_e32 v23, v25, v15, vcc
	v_cmp_lt_i32_e64 s[4:5], -1, v70
	v_cndmask_b32_e64 v23, v23, v17, s[6:7]
	s_and_saveexec_b64 s[14:15], s[4:5]
	s_cbranch_execz .LBB0_76
; %bb.73:
	v_mov_b32_e32 v26, v24
	v_mov_b32_e32 v35, -1
	s_mov_b64 s[16:17], 0
	v_mov_b32_e32 v27, 0xa0
	v_mov_b32_e32 v28, v70
	v_mov_b32_e32 v38, -1
	v_mov_b32_e32 v39, -1
	;; [unrolled: 1-line block ×3, first 2 shown]
	v_mov_b32_e32 v25, v23
                                        ; implicit-def: $sgpr18_sgpr19
.LBB0_74:                               ; =>This Inner Loop Header: Depth=1
	v_lshl_add_u32 v29, v28, 2, v27
	buffer_load_dword v29, v29, s[0:3], 0 offen offset:40
	v_cmp_le_f64_e32 vcc, 0, v[25:26]
	v_cmp_gt_f64_e64 s[6:7], 0, v[25:26]
	s_waitcnt vmcnt(0)
	v_cmp_gt_i32_e64 s[8:9], 0, v29
	v_cndmask_b32_e64 v30, v29, v70, s[8:9]
	v_cmp_eq_u32_e64 s[10:11], 1, v30
	v_cndmask_b32_e64 v25, v2, v4, s[10:11]
	v_cmp_eq_u32_e64 s[12:13], 2, v30
	v_cndmask_b32_e64 v25, v25, v6, s[12:13]
	v_cndmask_b32_e64 v26, v1, v3, s[10:11]
	v_cmp_eq_u32_e64 s[10:11], 3, v30
	v_cndmask_b32_e64 v25, v25, v8, s[10:11]
	;; [unrolled: 3-line block ×7, first 2 shown]
	v_cndmask_b32_e64 v25, v31, v15, s[10:11]
	v_cndmask_b32_e64 v25, v25, v17, s[12:13]
	v_cmp_gt_f64_e64 s[10:11], 0, v[25:26]
	v_cmp_le_f64_e64 s[12:13], 0, v[25:26]
	s_and_b64 vcc, vcc, s[10:11]
	s_and_b64 s[10:11], s[6:7], s[12:13]
	s_or_b64 s[16:17], s[8:9], s[16:17]
	s_andn2_b64 s[8:9], s[18:19], exec
	s_and_b64 s[6:7], s[6:7], exec
	v_cndmask_b32_e32 v39, v39, v30, vcc
	v_cndmask_b32_e64 v36, v36, v30, s[10:11]
	v_cndmask_b32_e32 v35, v35, v28, vcc
	v_cndmask_b32_e64 v38, v38, v28, s[10:11]
	v_mov_b32_e32 v28, v29
	s_or_b64 s[18:19], s[8:9], s[6:7]
	s_andn2_b64 exec, exec, s[16:17]
	s_cbranch_execnz .LBB0_74
; %bb.75:
	s_or_b64 exec, exec, s[16:17]
	s_and_b64 s[42:43], s[18:19], exec
.LBB0_76:
	s_or_b64 exec, exec, s[14:15]
	v_cmp_lt_i32_e64 s[6:7], -1, v35
	v_lshlrev_b32_e32 v72, 3, v73
	v_mov_b32_e32 v25, -1
	v_mov_b32_e32 v37, -1
	s_and_saveexec_b64 s[44:45], s[6:7]
	s_cbranch_execz .LBB0_78
; %bb.77:
	v_mov_b32_e32 v41, 0xa0
	v_lshl_add_u32 v25, v73, 2, v41
	v_cmp_eq_u32_e64 s[22:23], 1, v39
	v_cmp_eq_u32_e64 s[24:25], 1, v35
	buffer_load_dword v37, v25, s[0:3], 0 offen offset:40
	v_cndmask_b32_e64 v25, v2, v4, s[22:23]
	v_cmp_eq_u32_e64 s[20:21], 2, v39
	v_cndmask_b32_e64 v27, v2, v4, s[24:25]
	v_cmp_eq_u32_e64 s[26:27], 2, v35
	;; [unrolled: 2-line block ×14, first 2 shown]
	v_cndmask_b32_e64 v26, v25, v18, s[16:17]
	v_cndmask_b32_e64 v25, v1, v3, s[22:23]
	;; [unrolled: 1-line block ×18, first 2 shown]
	v_add_f64 v[29:30], -v[25:26], 0
	v_add_f64 v[31:32], v[27:28], -v[25:26]
	v_lshlrev_b32_e32 v55, 3, v35
	v_lshlrev_b32_e32 v56, 3, v39
	v_mov_b32_e32 v40, v56
	v_div_scale_f64 v[33:34], s[46:47], v[31:32], v[31:32], v[29:30]
	v_rcp_f64_e32 v[42:43], v[33:34]
	v_fma_f64 v[44:45], -v[33:34], v[42:43], 1.0
	v_fma_f64 v[42:43], v[42:43], v[44:45], v[42:43]
	v_fma_f64 v[44:45], -v[33:34], v[42:43], 1.0
	v_fma_f64 v[42:43], v[42:43], v[44:45], v[42:43]
	v_div_scale_f64 v[44:45], vcc, v[29:30], v[31:32], v[29:30]
	v_mul_f64 v[46:47], v[44:45], v[42:43]
	v_fma_f64 v[33:34], -v[33:34], v[46:47], v[44:45]
	s_nop 1
	v_div_fmas_f64 v[33:34], v[33:34], v[42:43], v[46:47]
	v_cmp_eq_u32_e32 vcc, 8, v73
	v_div_fixup_f64 v[29:30], v[33:34], v[31:32], v[29:30]
	v_cndmask_b32_e64 v31, v62, v82, s[24:25]
	v_cndmask_b32_e64 v31, v31, v80, s[26:27]
	;; [unrolled: 1-line block ×32, first 2 shown]
	v_add_f64 v[31:32], -v[29:30], 1.0
	v_cmp_eq_u32_e64 s[8:9], 7, v73
	v_cmp_eq_u32_e64 s[10:11], 6, v73
	;; [unrolled: 1-line block ×7, first 2 shown]
	v_mul_f64 v[42:43], v[31:32], v[42:43]
	v_cmp_eq_u32_e64 s[22:23], 0, v73
	v_mul_f64 v[25:26], v[25:26], v[31:32]
	v_cmp_eq_u32_e64 s[24:25], 1, v36
	v_cmp_eq_u32_e64 s[26:27], 2, v36
	;; [unrolled: 1-line block ×5, first 2 shown]
	v_fma_f64 v[33:34], v[29:30], v[33:34], v[42:43]
	v_cmp_eq_u32_e64 s[36:37], 6, v36
	v_cmp_eq_u32_e64 s[38:39], 7, v36
	;; [unrolled: 1-line block ×3, first 2 shown]
	v_cndmask_b32_e32 v48, v60, v33, vcc
	v_cndmask_b32_e32 v60, v83, v34, vcc
	v_cndmask_b32_e64 v54, v75, v34, s[8:9]
	v_cndmask_b32_e64 v53, v76, v34, s[10:11]
	;; [unrolled: 1-line block ×8, first 2 shown]
	v_mov_b32_e32 v34, v55
	v_cndmask_b32_e64 v47, v63, v33, s[8:9]
	v_cndmask_b32_e64 v46, v64, v33, s[10:11]
	;; [unrolled: 1-line block ×8, first 2 shown]
	buffer_load_dword v33, v34, s[0:3], 0 offen
	s_nop 0
	buffer_load_dword v34, v34, s[0:3], 0 offen offset:4
	s_nop 0
	buffer_load_dword v39, v40, s[0:3], 0 offen
	s_nop 0
	buffer_load_dword v40, v40, s[0:3], 0 offen offset:4
	v_fma_f64 v[61:62], v[27:28], v[29:30], v[25:26]
	v_cndmask_b32_e64 v25, v1, v61, s[22:23]
	s_waitcnt vmcnt(4)
	v_lshl_add_u32 v1, v37, 2, v41
	v_cndmask_b32_e64 v15, v15, v61, s[8:9]
	v_cndmask_b32_e64 v16, v16, v62, s[8:9]
	v_cmp_eq_u32_e64 s[8:9], 1, v38
	v_cndmask_b32_e64 v13, v13, v61, s[10:11]
	v_cndmask_b32_e64 v26, v3, v61, s[20:21]
	;; [unrolled: 1-line block ×3, first 2 shown]
	v_cmp_eq_u32_e64 s[10:11], 2, v38
	v_cndmask_b32_e64 v28, v7, v61, s[16:17]
	v_cndmask_b32_e64 v27, v5, v61, s[18:19]
	v_cndmask_b32_e32 v18, v18, v62, vcc
	v_cndmask_b32_e32 v17, v17, v61, vcc
	v_lshlrev_b32_e32 v41, 3, v36
	s_waitcnt vmcnt(0)
	v_mul_f64 v[39:40], v[31:32], v[39:40]
	v_fma_f64 v[33:34], v[29:30], v[33:34], v[39:40]
	v_mov_b32_e32 v39, v72
	buffer_store_dword v34, v39, s[0:3], 0 offen offset:4
	buffer_store_dword v33, v39, s[0:3], 0 offen
	v_add_u32_e32 v34, 0x50, v55
	v_add_u32_e32 v40, 0x50, v56
	buffer_load_dword v33, v34, s[0:3], 0 offen
	s_nop 0
	buffer_load_dword v34, v34, s[0:3], 0 offen offset:4
	s_nop 0
	buffer_load_dword v39, v40, s[0:3], 0 offen
	s_nop 0
	buffer_load_dword v40, v40, s[0:3], 0 offen offset:4
	s_waitcnt vmcnt(0)
	v_mul_f64 v[39:40], v[31:32], v[39:40]
	v_cndmask_b32_e64 v32, v4, v62, s[20:21]
	v_cndmask_b32_e64 v31, v2, v62, s[22:23]
	;; [unrolled: 1-line block ×3, first 2 shown]
	v_cmp_eq_u32_e64 s[20:21], 7, v38
	v_cmp_eq_u32_e64 s[22:23], 8, v38
	v_fma_f64 v[33:34], v[29:30], v[33:34], v[39:40]
	v_add_u32_e32 v39, 0x50, v72
	buffer_store_dword v34, v39, s[0:3], 0 offen offset:4
	buffer_store_dword v33, v39, s[0:3], 0 offen
	buffer_load_dword v1, v1, s[0:3], 0 offen offset:40
	v_cndmask_b32_e64 v33, v6, v62, s[18:19]
	v_cndmask_b32_e64 v30, v11, v61, s[12:13]
	;; [unrolled: 1-line block ×4, first 2 shown]
	v_cmp_eq_u32_e64 s[12:13], 3, v38
	v_cndmask_b32_e64 v3, v3, v33, s[26:27]
	v_cndmask_b32_e64 v29, v9, v61, s[14:15]
	;; [unrolled: 1-line block ×3, first 2 shown]
	v_cmp_eq_u32_e64 s[14:15], 4, v38
	v_cndmask_b32_e64 v3, v3, v34, s[28:29]
	v_cmp_eq_u32_e64 s[16:17], 5, v38
	v_cndmask_b32_e64 v3, v3, v39, s[30:31]
	;; [unrolled: 2-line block ×3, first 2 shown]
	v_cndmask_b32_e64 v3, v3, v14, s[36:37]
	v_cndmask_b32_e64 v3, v3, v16, s[38:39]
	;; [unrolled: 1-line block ×11, first 2 shown]
	s_waitcnt vmcnt(0)
	buffer_store_dword v1, off, s[0:3], 0 offset:244
	v_cndmask_b32_e64 v1, v31, v32, s[8:9]
	v_cndmask_b32_e64 v1, v1, v33, s[10:11]
	;; [unrolled: 1-line block ×16, first 2 shown]
	v_add_f64 v[5:6], -v[1:2], 0
	v_add_f64 v[7:8], v[3:4], -v[1:2]
	v_div_scale_f64 v[9:10], s[46:47], v[7:8], v[7:8], v[5:6]
	v_rcp_f64_e32 v[11:12], v[9:10]
	v_fma_f64 v[61:62], -v[9:10], v[11:12], 1.0
	v_fma_f64 v[11:12], v[11:12], v[61:62], v[11:12]
	v_fma_f64 v[61:62], -v[9:10], v[11:12], 1.0
	v_fma_f64 v[11:12], v[11:12], v[61:62], v[11:12]
	v_div_scale_f64 v[61:62], vcc, v[5:6], v[7:8], v[5:6]
	v_mul_f64 v[63:64], v[61:62], v[11:12]
	v_fma_f64 v[9:10], -v[9:10], v[63:64], v[61:62]
	s_nop 1
	v_div_fmas_f64 v[9:10], v[9:10], v[11:12], v[63:64]
	v_cmp_eq_u32_e32 vcc, 8, v37
	v_div_fixup_f64 v[5:6], v[9:10], v[7:8], v[5:6]
	v_cndmask_b32_e64 v7, v49, v50, s[24:25]
	v_cndmask_b32_e64 v7, v7, v51, s[26:27]
	;; [unrolled: 1-line block ×32, first 2 shown]
	v_add_f64 v[7:8], -v[5:6], 1.0
	v_cmp_eq_u32_e64 s[22:23], 0, v37
	v_cmp_eq_u32_e64 s[8:9], 7, v37
	;; [unrolled: 1-line block ×7, first 2 shown]
	v_mul_f64 v[11:12], v[7:8], v[11:12]
	v_cmp_eq_u32_e64 s[20:21], 1, v37
	v_mul_f64 v[1:2], v[1:2], v[7:8]
	v_fma_f64 v[9:10], v[5:6], v[9:10], v[11:12]
	v_fma_f64 v[1:2], v[3:4], v[5:6], v[1:2]
	v_cndmask_b32_e64 v61, v42, v9, s[22:23]
	v_lshlrev_b32_e32 v42, 3, v38
	v_cndmask_b32_e32 v83, v60, v10, vcc
	v_cndmask_b32_e32 v60, v48, v9, vcc
	v_cndmask_b32_e64 v63, v47, v9, s[8:9]
	v_cndmask_b32_e64 v64, v46, v9, s[10:11]
	;; [unrolled: 1-line block ×7, first 2 shown]
	v_mov_b32_e32 v9, v41
	v_mov_b32_e32 v11, v42
	v_cndmask_b32_e64 v75, v54, v10, s[8:9]
	v_cndmask_b32_e64 v76, v53, v10, s[10:11]
	;; [unrolled: 1-line block ×8, first 2 shown]
	buffer_load_dword v10, v9, s[0:3], 0 offen offset:4
	s_nop 0
	buffer_load_dword v9, v9, s[0:3], 0 offen
	s_nop 0
	buffer_load_dword v12, v11, s[0:3], 0 offen offset:4
	s_nop 0
	buffer_load_dword v11, v11, s[0:3], 0 offen
	v_lshlrev_b32_e32 v38, 3, v37
	v_cndmask_b32_e32 v18, v18, v2, vcc
	v_cndmask_b32_e32 v17, v17, v1, vcc
	v_cndmask_b32_e64 v16, v16, v2, s[8:9]
	v_cndmask_b32_e64 v15, v15, v1, s[8:9]
	v_cndmask_b32_e64 v14, v14, v2, s[10:11]
	v_cndmask_b32_e64 v13, v13, v1, s[10:11]
	v_cndmask_b32_e64 v4, v32, v2, s[20:21]
	v_cndmask_b32_e64 v3, v26, v1, s[20:21]
	s_waitcnt vmcnt(0)
	v_mul_f64 v[11:12], v[7:8], v[11:12]
	v_fma_f64 v[9:10], v[5:6], v[9:10], v[11:12]
	v_mov_b32_e32 v11, v38
	buffer_store_dword v9, v11, s[0:3], 0 offen
	buffer_store_dword v10, v11, s[0:3], 0 offen offset:4
	v_add_u32_e32 v9, 0x50, v41
	v_add_u32_e32 v11, 0x50, v42
	buffer_load_dword v10, v9, s[0:3], 0 offen offset:4
	s_nop 0
	buffer_load_dword v9, v9, s[0:3], 0 offen
	s_nop 0
	buffer_load_dword v12, v11, s[0:3], 0 offen offset:4
	s_nop 0
	buffer_load_dword v11, v11, s[0:3], 0 offen
	s_waitcnt vmcnt(0)
	v_mul_f64 v[11:12], v[7:8], v[11:12]
	v_cndmask_b32_e64 v8, v34, v2, s[16:17]
	v_cndmask_b32_e64 v7, v28, v1, s[16:17]
	v_fma_f64 v[9:10], v[5:6], v[9:10], v[11:12]
	v_add_u32_e32 v11, 0x50, v38
	buffer_store_dword v9, v11, s[0:3], 0 offen
	buffer_store_dword v10, v11, s[0:3], 0 offen offset:4
	v_cndmask_b32_e64 v12, v40, v2, s[12:13]
	v_cndmask_b32_e64 v11, v30, v1, s[12:13]
	;; [unrolled: 1-line block ×8, first 2 shown]
	v_mov_b32_e32 v25, v73
.LBB0_78:
	s_or_b64 exec, exec, s[44:45]
	v_mov_b32_e32 v26, -1
	buffer_store_dword v26, off, s[0:3], 0 offset:240
	s_and_saveexec_b64 s[22:23], s[4:5]
	s_cbranch_execz .LBB0_87
; %bb.79:
	s_mov_b64 s[24:25], 0
	v_mov_b32_e32 v26, 0xa0
	v_mov_b32_e32 v27, v70
	s_branch .LBB0_81
.LBB0_80:                               ;   in Loop: Header=BB0_81 Depth=1
	s_or_b64 exec, exec, s[10:11]
	s_waitcnt vmcnt(0)
	v_cmp_gt_i32_e32 vcc, 0, v28
	s_or_b64 s[24:25], vcc, s[24:25]
	v_mov_b32_e32 v27, v28
	s_andn2_b64 exec, exec, s[24:25]
	s_cbranch_execz .LBB0_87
.LBB0_81:                               ; =>This Inner Loop Header: Depth=1
	v_lshl_add_u32 v29, v27, 2, v26
	buffer_load_dword v28, v29, s[0:3], 0 offen offset:40
	v_cmp_eq_u32_e32 vcc, 1, v27
	v_cndmask_b32_e32 v30, v2, v4, vcc
	v_cmp_eq_u32_e64 s[8:9], 2, v27
	v_cndmask_b32_e64 v30, v30, v6, s[8:9]
	v_cmp_eq_u32_e64 s[10:11], 3, v27
	v_cndmask_b32_e64 v30, v30, v8, s[10:11]
	;; [unrolled: 2-line block ×7, first 2 shown]
	v_cndmask_b32_e32 v30, v1, v3, vcc
	v_cndmask_b32_e64 v30, v30, v5, s[8:9]
	v_cndmask_b32_e64 v30, v30, v7, s[10:11]
	v_cndmask_b32_e64 v30, v30, v9, s[12:13]
	v_cndmask_b32_e64 v30, v30, v11, s[14:15]
	v_cndmask_b32_e64 v30, v30, v13, s[16:17]
	v_cndmask_b32_e64 v30, v30, v15, s[18:19]
	v_cndmask_b32_e64 v30, v30, v17, s[20:21]
	v_cmp_ngt_f64_e32 vcc, 0, v[30:31]
	s_mov_b64 s[8:9], 0
	s_and_saveexec_b64 s[10:11], vcc
	s_xor_b64 s[10:11], exec, s[10:11]
	s_cbranch_execnz .LBB0_84
; %bb.82:                               ;   in Loop: Header=BB0_81 Depth=1
	s_or_saveexec_b64 s[10:11], s[10:11]
	v_mov_b32_e32 v30, 0xf0
	s_xor_b64 exec, exec, s[10:11]
	s_cbranch_execnz .LBB0_85
.LBB0_83:                               ;   in Loop: Header=BB0_81 Depth=1
	s_or_b64 exec, exec, s[10:11]
	s_and_saveexec_b64 s[10:11], s[8:9]
	s_cbranch_execz .LBB0_80
	s_branch .LBB0_86
.LBB0_84:                               ;   in Loop: Header=BB0_81 Depth=1
	buffer_load_dword v29, off, s[0:3], 0 offset:240
	s_waitcnt vmcnt(0)
	v_cmp_eq_u32_e32 vcc, -1, v29
	s_and_b64 s[8:9], vcc, exec
                                        ; implicit-def: $vgpr29
	s_or_saveexec_b64 s[10:11], s[10:11]
	v_mov_b32_e32 v30, 0xf0
	s_xor_b64 exec, exec, s[10:11]
	s_cbranch_execz .LBB0_83
.LBB0_85:                               ;   in Loop: Header=BB0_81 Depth=1
	buffer_load_dword v31, off, s[0:3], 0 offset:244
	v_mov_b32_e32 v30, 0xf4
	s_or_b64 s[8:9], s[8:9], exec
	s_waitcnt vmcnt(0)
	buffer_store_dword v31, v29, s[0:3], 0 offen offset:40
	s_or_b64 exec, exec, s[10:11]
	s_and_saveexec_b64 s[10:11], s[8:9]
	s_cbranch_execz .LBB0_80
.LBB0_86:                               ;   in Loop: Header=BB0_81 Depth=1
	buffer_store_dword v27, v30, s[0:3], 0 offen
	s_branch .LBB0_80
.LBB0_87:
	s_or_b64 exec, exec, s[22:23]
	s_and_saveexec_b64 s[8:9], s[6:7]
	s_cbranch_execz .LBB0_89
; %bb.88:
	v_cmp_gt_f64_e32 vcc, 0, v[23:24]
	v_mov_b32_e32 v23, 0xa0
	v_lshl_add_u32 v24, v35, 2, v23
	v_lshl_add_u32 v26, v25, 2, v23
	;; [unrolled: 1-line block ×3, first 2 shown]
	buffer_store_dword v25, v24, s[0:3], 0 offen offset:40
	s_and_b64 s[6:7], s[4:5], vcc
	s_or_b64 s[6:7], s[42:43], s[6:7]
	v_cndmask_b32_e64 v24, v36, -1, s[6:7]
	buffer_store_dword v37, v26, s[0:3], 0 offen offset:40
	buffer_store_dword v24, v23, s[0:3], 0 offen offset:40
.LBB0_89:
	s_or_b64 exec, exec, s[8:9]
	buffer_load_dword v37, off, s[0:3], 0 offset:240
	v_mov_b32_e32 v31, 0
	v_mov_b32_e32 v27, 0
	;; [unrolled: 1-line block ×10, first 2 shown]
	s_waitcnt vmcnt(0)
	v_cmp_lt_i32_e32 vcc, -1, v37
	s_and_saveexec_b64 s[20:21], vcc
	s_cbranch_execz .LBB0_95
; %bb.90:
	v_mov_b32_e32 v74, 0xa0
	v_lshl_add_u32 v23, v37, 2, v74
	buffer_load_dword v39, v23, s[0:3], 0 offen offset:40
	v_mov_b32_e32 v25, 0
	v_mov_b32_e32 v29, 0
	;; [unrolled: 1-line block ×6, first 2 shown]
	s_waitcnt vmcnt(0)
	v_lshl_add_u32 v23, v39, 2, v74
	buffer_load_dword v51, v23, s[0:3], 0 offen offset:40
	v_mov_b32_e32 v23, 0
	v_mov_b32_e32 v24, 0
	s_waitcnt vmcnt(0)
	v_cmp_lt_i32_e32 vcc, -1, v51
	s_and_saveexec_b64 s[22:23], vcc
	s_cbranch_execz .LBB0_94
; %bb.91:
	v_lshlrev_b32_e32 v23, 3, v37
	buffer_store_dword v77, off, s[0:3], 0 offset:368 ; 4-byte Folded Spill
	s_nop 0
	buffer_store_dword v78, off, s[0:3], 0 offset:372 ; 4-byte Folded Spill
	v_mov_b32_e32 v24, v23
	v_lshlrev_b32_e32 v25, 3, v39
	v_add_u32_e32 v23, 0x50, v23
	v_mov_b32_e32 v26, v25
	v_add_u32_e32 v25, 0x50, v25
	buffer_load_dword v33, v24, s[0:3], 0 offen
	buffer_load_dword v34, v24, s[0:3], 0 offen offset:4
	buffer_load_dword v35, v23, s[0:3], 0 offen
	buffer_load_dword v65, v26, s[0:3], 0 offen
	buffer_load_dword v66, v26, s[0:3], 0 offen offset:4
	buffer_load_dword v49, v25, s[0:3], 0 offen
	buffer_load_dword v50, v25, s[0:3], 0 offen offset:4
	buffer_load_dword v36, v23, s[0:3], 0 offen offset:4
	v_cmp_eq_u32_e32 vcc, 1, v37
	v_cndmask_b32_e32 v23, v62, v82, vcc
	v_cmp_eq_u32_e64 s[6:7], 1, v39
	v_cmp_eq_u32_e64 s[8:9], 2, v37
	v_cndmask_b32_e64 v24, v62, v82, s[6:7]
	v_cndmask_b32_e64 v23, v23, v80, s[8:9]
	v_cndmask_b32_e32 v25, v61, v81, vcc
	v_cmp_eq_u32_e32 vcc, 2, v39
	v_cndmask_b32_e64 v26, v61, v81, s[6:7]
	v_cmp_eq_u32_e64 s[6:7], 3, v37
	v_cndmask_b32_e32 v24, v24, v80, vcc
	v_cndmask_b32_e64 v23, v23, v20, s[6:7]
	v_cndmask_b32_e64 v25, v25, v79, s[8:9]
	v_cmp_eq_u32_e64 s[8:9], 3, v39
	v_cndmask_b32_e32 v26, v26, v79, vcc
	v_cmp_eq_u32_e32 vcc, 4, v37
	v_cndmask_b32_e64 v24, v24, v20, s[8:9]
	v_cndmask_b32_e32 v23, v23, v22, vcc
	v_cndmask_b32_e64 v25, v25, v19, s[6:7]
	v_cmp_eq_u32_e64 s[6:7], 4, v39
	v_cndmask_b32_e64 v26, v26, v19, s[8:9]
	v_cmp_eq_u32_e64 s[8:9], 5, v37
	v_cndmask_b32_e64 v24, v24, v22, s[6:7]
	v_cndmask_b32_e64 v23, v23, v59, s[8:9]
	v_cndmask_b32_e32 v25, v25, v21, vcc
	v_cmp_eq_u32_e32 vcc, 5, v39
	v_cndmask_b32_e64 v26, v26, v21, s[6:7]
	v_cmp_eq_u32_e64 s[6:7], 6, v37
	v_cndmask_b32_e32 v24, v24, v59, vcc
	v_cndmask_b32_e64 v23, v23, v76, s[6:7]
	v_cndmask_b32_e64 v25, v25, v69, s[8:9]
	v_cmp_eq_u32_e64 s[8:9], 6, v39
	v_cndmask_b32_e32 v26, v26, v69, vcc
	v_cmp_eq_u32_e32 vcc, 7, v37
	v_cndmask_b32_e64 v24, v24, v76, s[8:9]
	v_cndmask_b32_e32 v23, v23, v75, vcc
	v_cndmask_b32_e64 v25, v25, v64, s[6:7]
	v_cmp_eq_u32_e64 s[6:7], 7, v39
	v_cndmask_b32_e64 v26, v26, v64, s[8:9]
	v_cmp_eq_u32_e64 s[8:9], 8, v37
	v_cndmask_b32_e64 v24, v24, v75, s[6:7]
	v_cndmask_b32_e64 v38, v23, v83, s[8:9]
	v_cndmask_b32_e32 v23, v25, v63, vcc
	v_cmp_eq_u32_e32 vcc, 8, v39
	v_cndmask_b32_e32 v40, v24, v83, vcc
	v_cndmask_b32_e64 v24, v26, v63, s[6:7]
	v_cndmask_b32_e64 v37, v23, v60, s[8:9]
	v_cndmask_b32_e32 v39, v24, v60, vcc
	v_add_f64 v[41:42], v[39:40], -v[37:38]
	v_mov_b32_e32 v27, 0
	v_mov_b32_e32 v29, 0
	;; [unrolled: 1-line block ×9, first 2 shown]
	s_mov_b64 s[24:25], 0
	s_waitcnt vmcnt(3)
	v_add_f64 v[43:44], v[65:66], -v[33:34]
.LBB0_92:                               ; =>This Inner Loop Header: Depth=1
	v_cmp_eq_u32_e32 vcc, 1, v51
	v_cndmask_b32_e32 v45, v62, v82, vcc
	v_cmp_eq_u32_e64 s[6:7], 2, v51
	v_cndmask_b32_e64 v45, v45, v80, s[6:7]
	v_cmp_eq_u32_e64 s[8:9], 3, v51
	v_cndmask_b32_e64 v45, v45, v20, s[8:9]
	;; [unrolled: 2-line block ×7, first 2 shown]
	v_cndmask_b32_e32 v45, v61, v81, vcc
	v_cndmask_b32_e64 v45, v45, v79, s[6:7]
	v_cndmask_b32_e64 v45, v45, v19, s[8:9]
	;; [unrolled: 1-line block ×5, first 2 shown]
	v_lshlrev_b32_e32 v47, 3, v51
	v_cndmask_b32_e64 v45, v45, v63, s[16:17]
	v_mov_b32_e32 v46, v47
	v_cndmask_b32_e64 v67, v45, v60, s[18:19]
	buffer_load_dword v45, v46, s[0:3], 0 offen
	s_nop 0
	buffer_load_dword v46, v46, s[0:3], 0 offen offset:4
	v_add_u32_e32 v48, 0x50, v47
	buffer_load_dword v47, v48, s[0:3], 0 offen
	s_nop 0
	buffer_load_dword v48, v48, s[0:3], 0 offen offset:4
	v_add_f64 v[71:72], v[67:68], -v[37:38]
	s_waitcnt vmcnt(4)
	v_mul_f64 v[77:78], v[37:38], v[35:36]
	v_mul_f64 v[43:44], v[43:44], v[71:72]
	s_waitcnt vmcnt(2)
	v_add_f64 v[53:54], v[45:46], -v[33:34]
	v_fma_f64 v[41:42], v[41:42], v[53:54], -v[43:44]
	v_add_f64 v[43:44], v[35:36], v[49:50]
	s_waitcnt vmcnt(0)
	v_add_f64 v[43:44], v[43:44], v[47:48]
	v_mul_f64 v[55:56], v[43:44], v[41:42]
	v_fma_f64 v[27:28], v[43:44], v[41:42], v[27:28]
	v_add_f64 v[43:44], v[37:38], v[39:40]
	v_fma_f64 v[39:40], v[39:40], v[49:50], v[77:78]
	v_add_f64 v[43:44], v[43:44], v[67:68]
	v_fma_f64 v[39:40], v[67:68], v[47:48], v[39:40]
	v_mul_f64 v[43:44], v[43:44], v[55:56]
	v_fma_f64 v[39:40], v[41:42], v[39:40], v[43:44]
	v_mul_f64 v[43:44], v[33:34], v[35:36]
	v_add_f64 v[29:30], v[29:30], v[39:40]
	v_add_f64 v[39:40], v[33:34], v[65:66]
	v_fma_f64 v[43:44], v[65:66], v[49:50], v[43:44]
	v_mov_b32_e32 v66, v46
	v_mov_b32_e32 v65, v45
	v_add_f64 v[39:40], v[39:40], v[45:46]
	v_fma_f64 v[43:44], v[45:46], v[47:48], v[43:44]
	v_mul_f64 v[39:40], v[39:40], v[55:56]
	v_fma_f64 v[39:40], v[41:42], v[43:44], v[39:40]
	v_mov_b32_e32 v43, v53
	v_mov_b32_e32 v44, v54
	v_add_f64 v[25:26], v[25:26], v[39:40]
	v_mul_f64 v[39:40], v[35:36], v[35:36]
	v_fma_f64 v[39:40], v[49:50], v[49:50], v[39:40]
	v_fma_f64 v[39:40], v[47:48], v[47:48], v[39:40]
	;; [unrolled: 1-line block ×5, first 2 shown]
	v_mov_b32_e32 v50, v48
	v_mov_b32_e32 v49, v47
	v_fma_f64 v[23:24], v[41:42], v[39:40], v[23:24]
	v_lshl_add_u32 v39, v51, 2, v74
	buffer_load_dword v51, v39, s[0:3], 0 offen offset:40
	v_mov_b32_e32 v39, v67
	v_mov_b32_e32 v41, v71
	;; [unrolled: 1-line block ×4, first 2 shown]
	s_waitcnt vmcnt(0)
	v_cmp_gt_i32_e32 vcc, 0, v51
	s_or_b64 s[24:25], vcc, s[24:25]
	s_andn2_b64 exec, exec, s[24:25]
	s_cbranch_execnz .LBB0_92
; %bb.93:
	s_or_b64 exec, exec, s[24:25]
	buffer_load_dword v77, off, s[0:3], 0 offset:368 ; 4-byte Folded Reload
	buffer_load_dword v78, off, s[0:3], 0 offset:372 ; 4-byte Folded Reload
	v_mov_b32_e32 v72, v52
.LBB0_94:
	s_or_b64 exec, exec, s[22:23]
.LBB0_95:
	s_or_b64 exec, exec, s[20:21]
	s_and_saveexec_b64 s[22:23], s[4:5]
	s_cbranch_execz .LBB0_99
; %bb.96:
	s_mov_b32 s26, 0x4ad4b81f
	s_mov_b64 s[24:25], 0
	s_mov_b32 s27, 0xb58dee7a
	v_mov_b32_e32 v31, 0xa0
	v_mov_b32_e32 v32, v70
.LBB0_97:                               ; =>This Inner Loop Header: Depth=1
	v_lshl_add_u32 v35, v32, 2, v31
	v_cmp_eq_u32_e32 vcc, 1, v32
	v_cmp_eq_u32_e64 s[6:7], 2, v32
	v_cmp_eq_u32_e64 s[8:9], 3, v32
	;; [unrolled: 1-line block ×8, first 2 shown]
	buffer_load_dword v32, v35, s[0:3], 0 offen
	v_cndmask_b32_e32 v33, v2, v4, vcc
	v_cndmask_b32_e64 v33, v33, v6, s[6:7]
	v_cndmask_b32_e32 v34, v1, v3, vcc
	v_cndmask_b32_e64 v33, v33, v8, s[8:9]
	v_cndmask_b32_e64 v34, v34, v5, s[6:7]
	v_cndmask_b32_e64 v33, v33, v10, s[10:11]
	v_cndmask_b32_e64 v34, v34, v7, s[8:9]
	v_cndmask_b32_e64 v33, v33, v12, s[12:13]
	v_cndmask_b32_e64 v34, v34, v9, s[10:11]
	v_cndmask_b32_e64 v33, v33, v14, s[14:15]
	v_cndmask_b32_e64 v34, v34, v11, s[12:13]
	v_cndmask_b32_e64 v33, v33, v16, s[16:17]
	v_cndmask_b32_e64 v36, v34, v13, s[14:15]
	v_cndmask_b32_e64 v34, v33, v18, s[18:19]
	v_cndmask_b32_e64 v33, v36, v15, s[16:17]
	v_cndmask_b32_e64 v33, v33, v17, s[18:19]
	v_add_f64 v[33:34], -v[33:34], s[26:27]
	v_cndmask_b32_e32 v4, v4, v34, vcc
	v_cndmask_b32_e32 v3, v3, v33, vcc
	v_cndmask_b32_e64 v18, v18, v34, s[18:19]
	v_cndmask_b32_e64 v17, v17, v33, s[18:19]
	;; [unrolled: 1-line block ×16, first 2 shown]
	s_waitcnt vmcnt(0)
	v_cmp_gt_i32_e32 vcc, 0, v32
	s_or_b64 s[24:25], vcc, s[24:25]
	s_andn2_b64 exec, exec, s[24:25]
	s_cbranch_execnz .LBB0_97
; %bb.98:
	s_or_b64 exec, exec, s[24:25]
	v_cmp_eq_u32_e32 vcc, 1, v70
	v_cndmask_b32_e32 v31, v2, v4, vcc
	v_cmp_eq_u32_e64 s[6:7], 2, v70
	v_cndmask_b32_e64 v31, v31, v6, s[6:7]
	v_cmp_eq_u32_e64 s[8:9], 3, v70
	v_cndmask_b32_e64 v31, v31, v8, s[8:9]
	v_cmp_eq_u32_e64 s[10:11], 4, v70
	v_cndmask_b32_e64 v31, v31, v10, s[10:11]
	v_cmp_eq_u32_e64 s[12:13], 5, v70
	v_cndmask_b32_e64 v31, v31, v12, s[12:13]
	v_cmp_eq_u32_e64 s[14:15], 6, v70
	v_cndmask_b32_e64 v31, v31, v14, s[14:15]
	v_cmp_eq_u32_e64 s[16:17], 7, v70
	v_cndmask_b32_e64 v31, v31, v16, s[16:17]
	v_cmp_eq_u32_e64 s[18:19], 8, v70
	v_cndmask_b32_e64 v32, v31, v18, s[18:19]
	v_cndmask_b32_e32 v31, v1, v3, vcc
	v_cndmask_b32_e64 v31, v31, v5, s[6:7]
	v_cndmask_b32_e64 v31, v31, v7, s[8:9]
	;; [unrolled: 1-line block ×7, first 2 shown]
.LBB0_99:
	s_or_b64 exec, exec, s[22:23]
	v_mov_b32_e32 v34, v32
	v_mov_b32_e32 v45, -1
	v_mov_b32_e32 v48, -1
	;; [unrolled: 1-line block ×3, first 2 shown]
	v_mov_b32_e32 v33, v31
	v_mov_b32_e32 v46, -1
	s_and_saveexec_b64 s[14:15], s[4:5]
	s_cbranch_execz .LBB0_103
; %bb.100:
	v_mov_b32_e32 v36, v32
	v_mov_b32_e32 v45, -1
	s_mov_b64 s[16:17], 0
	v_mov_b32_e32 v37, v70
	v_mov_b32_e32 v48, -1
	v_mov_b32_e32 v49, -1
	;; [unrolled: 1-line block ×3, first 2 shown]
	v_mov_b32_e32 v35, v31
.LBB0_101:                              ; =>This Inner Loop Header: Depth=1
	v_mov_b32_e32 v33, 0xa0
	v_lshl_add_u32 v33, v37, 2, v33
	buffer_load_dword v38, v33, s[0:3], 0 offen
	v_mov_b32_e32 v33, v35
	v_mov_b32_e32 v34, v36
	v_cmp_le_f64_e64 s[6:7], 0, v[33:34]
	s_waitcnt vmcnt(0)
	v_cmp_gt_i32_e32 vcc, 0, v38
	v_cndmask_b32_e32 v39, v38, v70, vcc
	v_cmp_eq_u32_e64 s[8:9], 1, v39
	v_cndmask_b32_e64 v35, v2, v4, s[8:9]
	v_cmp_eq_u32_e64 s[10:11], 2, v39
	v_cndmask_b32_e64 v35, v35, v6, s[10:11]
	v_cndmask_b32_e64 v36, v1, v3, s[8:9]
	v_cmp_eq_u32_e64 s[8:9], 3, v39
	v_cndmask_b32_e64 v35, v35, v8, s[8:9]
	;; [unrolled: 3-line block ×7, first 2 shown]
	v_cndmask_b32_e64 v35, v40, v15, s[8:9]
	v_cndmask_b32_e64 v35, v35, v17, s[10:11]
	v_cmp_gt_f64_e64 s[8:9], 0, v[35:36]
	v_cmp_gt_f64_e64 s[10:11], 0, v[33:34]
	v_cmp_le_f64_e64 s[12:13], 0, v[35:36]
	s_and_b64 s[6:7], s[6:7], s[8:9]
	v_cndmask_b32_e64 v49, v49, v39, s[6:7]
	s_and_b64 s[8:9], s[10:11], s[12:13]
	v_cndmask_b32_e64 v46, v46, v39, s[8:9]
	v_cndmask_b32_e64 v45, v45, v37, s[6:7]
	;; [unrolled: 1-line block ×3, first 2 shown]
	s_or_b64 s[16:17], vcc, s[16:17]
	v_mov_b32_e32 v37, v38
	s_andn2_b64 exec, exec, s[16:17]
	s_cbranch_execnz .LBB0_101
; %bb.102:
	s_or_b64 exec, exec, s[16:17]
.LBB0_103:
	s_or_b64 exec, exec, s[14:15]
	v_cmp_lt_i32_e64 s[6:7], -1, v45
	v_mov_b32_e32 v35, -1
	v_mov_b32_e32 v47, -1
	s_and_saveexec_b64 s[42:43], s[6:7]
	s_cbranch_execz .LBB0_105
; %bb.104:
	v_mov_b32_e32 v51, 0xa0
	v_lshl_add_u32 v35, v73, 2, v51
	v_cmp_eq_u32_e64 s[22:23], 1, v49
	v_cmp_eq_u32_e64 s[24:25], 1, v45
	buffer_load_dword v47, v35, s[0:3], 0 offen
	v_cndmask_b32_e64 v35, v2, v4, s[22:23]
	v_cmp_eq_u32_e64 s[20:21], 2, v49
	v_cndmask_b32_e64 v37, v2, v4, s[24:25]
	v_cmp_eq_u32_e64 s[26:27], 2, v45
	;; [unrolled: 2-line block ×14, first 2 shown]
	v_cndmask_b32_e64 v36, v35, v18, s[16:17]
	v_cndmask_b32_e64 v35, v1, v3, s[22:23]
	v_cndmask_b32_e64 v38, v37, v18, s[40:41]
	v_cndmask_b32_e64 v37, v1, v3, s[24:25]
	v_cndmask_b32_e64 v35, v35, v5, s[20:21]
	v_cndmask_b32_e64 v37, v37, v5, s[26:27]
	v_cndmask_b32_e64 v35, v35, v7, s[18:19]
	v_cndmask_b32_e64 v37, v37, v7, s[28:29]
	v_cndmask_b32_e64 v35, v35, v9, s[8:9]
	v_cndmask_b32_e64 v37, v37, v9, s[30:31]
	v_cndmask_b32_e64 v35, v35, v11, s[10:11]
	v_cndmask_b32_e64 v37, v37, v11, s[34:35]
	v_cndmask_b32_e64 v35, v35, v13, s[12:13]
	v_cndmask_b32_e64 v37, v37, v13, s[36:37]
	v_cndmask_b32_e64 v35, v35, v15, s[14:15]
	v_cndmask_b32_e64 v37, v37, v15, s[38:39]
	v_cndmask_b32_e64 v35, v35, v17, s[16:17]
	v_cndmask_b32_e64 v37, v37, v17, s[40:41]
	v_add_f64 v[39:40], -v[35:36], 0
	v_add_f64 v[41:42], v[37:38], -v[35:36]
	v_lshlrev_b32_e32 v56, 3, v49
	v_mov_b32_e32 v50, v56
	v_div_scale_f64 v[43:44], s[44:45], v[41:42], v[41:42], v[39:40]
	v_rcp_f64_e32 v[52:53], v[43:44]
	v_fma_f64 v[54:55], -v[43:44], v[52:53], 1.0
	v_fma_f64 v[52:53], v[52:53], v[54:55], v[52:53]
	v_fma_f64 v[54:55], -v[43:44], v[52:53], 1.0
	v_fma_f64 v[52:53], v[52:53], v[54:55], v[52:53]
	v_div_scale_f64 v[54:55], vcc, v[39:40], v[41:42], v[39:40]
	v_mul_f64 v[65:66], v[54:55], v[52:53]
	v_fma_f64 v[43:44], -v[43:44], v[65:66], v[54:55]
	v_lshlrev_b32_e32 v55, 3, v45
	s_nop 0
	v_div_fmas_f64 v[43:44], v[43:44], v[52:53], v[65:66]
	v_cmp_eq_u32_e32 vcc, 8, v73
	v_div_fixup_f64 v[39:40], v[43:44], v[41:42], v[39:40]
	v_cndmask_b32_e64 v41, v62, v82, s[24:25]
	v_cndmask_b32_e64 v41, v41, v80, s[26:27]
	;; [unrolled: 1-line block ×32, first 2 shown]
	v_add_f64 v[41:42], -v[39:40], 1.0
	v_cmp_eq_u32_e64 s[8:9], 7, v73
	v_cmp_eq_u32_e64 s[10:11], 6, v73
	;; [unrolled: 1-line block ×7, first 2 shown]
	v_mul_f64 v[52:53], v[41:42], v[52:53]
	v_cmp_eq_u32_e64 s[22:23], 0, v73
	v_mul_f64 v[35:36], v[35:36], v[41:42]
	v_cmp_eq_u32_e64 s[24:25], 1, v46
	v_cmp_eq_u32_e64 s[26:27], 2, v46
	;; [unrolled: 1-line block ×5, first 2 shown]
	v_fma_f64 v[43:44], v[39:40], v[43:44], v[52:53]
	v_cmp_eq_u32_e64 s[36:37], 6, v46
	v_cmp_eq_u32_e64 s[38:39], 7, v46
	;; [unrolled: 1-line block ×3, first 2 shown]
	v_cndmask_b32_e64 v65, v69, v43, s[12:13]
	v_cndmask_b32_e64 v52, v61, v43, s[22:23]
	v_cndmask_b32_e32 v71, v83, v44, vcc
	v_cndmask_b32_e64 v69, v75, v44, s[8:9]
	v_cndmask_b32_e64 v68, v76, v44, s[10:11]
	;; [unrolled: 1-line block ×8, first 2 shown]
	v_mov_b32_e32 v44, v55
	v_cndmask_b32_e32 v60, v60, v43, vcc
	v_cndmask_b32_e64 v63, v63, v43, s[8:9]
	v_cndmask_b32_e64 v64, v64, v43, s[10:11]
	;; [unrolled: 1-line block ×6, first 2 shown]
	buffer_load_dword v43, v44, s[0:3], 0 offen
	s_nop 0
	buffer_load_dword v44, v44, s[0:3], 0 offen offset:4
	s_nop 0
	buffer_load_dword v49, v50, s[0:3], 0 offen
	s_nop 0
	buffer_load_dword v50, v50, s[0:3], 0 offen offset:4
	s_waitcnt vmcnt(0)
	v_mul_f64 v[49:50], v[41:42], v[49:50]
	v_fma_f64 v[43:44], v[39:40], v[43:44], v[49:50]
	v_mov_b32_e32 v49, v72
	buffer_store_dword v44, v49, s[0:3], 0 offen offset:4
	buffer_store_dword v43, v49, s[0:3], 0 offen
	v_add_u32_e32 v44, 0x50, v55
	v_add_u32_e32 v50, 0x50, v56
	buffer_load_dword v43, v44, s[0:3], 0 offen
	s_nop 0
	buffer_load_dword v44, v44, s[0:3], 0 offen offset:4
	s_nop 0
	buffer_load_dword v49, v50, s[0:3], 0 offen
	s_nop 0
	buffer_load_dword v50, v50, s[0:3], 0 offen offset:4
	v_fma_f64 v[55:56], v[37:38], v[39:40], v[35:36]
	v_cndmask_b32_e64 v35, v1, v55, s[22:23]
	v_lshl_add_u32 v1, v47, 2, v51
	v_cndmask_b32_e64 v15, v15, v55, s[8:9]
	v_cndmask_b32_e64 v16, v16, v56, s[8:9]
	v_cmp_eq_u32_e64 s[8:9], 1, v48
	v_cndmask_b32_e64 v13, v13, v55, s[10:11]
	v_cndmask_b32_e64 v36, v3, v55, s[20:21]
	v_cndmask_b32_e64 v14, v14, v56, s[10:11]
	v_cmp_eq_u32_e64 s[10:11], 2, v48
	v_cndmask_b32_e64 v38, v7, v55, s[16:17]
	v_cndmask_b32_e64 v37, v5, v55, s[18:19]
	v_cndmask_b32_e32 v18, v18, v56, vcc
	v_cndmask_b32_e32 v17, v17, v55, vcc
	v_lshlrev_b32_e32 v51, 3, v46
	s_waitcnt vmcnt(0)
	v_mul_f64 v[49:50], v[41:42], v[49:50]
	v_cndmask_b32_e64 v42, v4, v56, s[20:21]
	v_cndmask_b32_e64 v41, v2, v56, s[22:23]
	;; [unrolled: 1-line block ×3, first 2 shown]
	v_cmp_eq_u32_e64 s[20:21], 7, v48
	v_cmp_eq_u32_e64 s[22:23], 8, v48
	v_fma_f64 v[43:44], v[39:40], v[43:44], v[49:50]
	v_add_u32_e32 v49, 0x50, v72
	buffer_store_dword v44, v49, s[0:3], 0 offen offset:4
	buffer_store_dword v43, v49, s[0:3], 0 offen
	buffer_load_dword v1, v1, s[0:3], 0 offen
	v_cndmask_b32_e64 v43, v6, v56, s[18:19]
	v_cndmask_b32_e64 v40, v11, v55, s[12:13]
	;; [unrolled: 1-line block ×4, first 2 shown]
	v_cmp_eq_u32_e64 s[12:13], 3, v48
	v_cndmask_b32_e64 v3, v3, v43, s[26:27]
	v_cndmask_b32_e64 v39, v9, v55, s[14:15]
	;; [unrolled: 1-line block ×3, first 2 shown]
	v_cmp_eq_u32_e64 s[14:15], 4, v48
	v_cndmask_b32_e64 v3, v3, v44, s[28:29]
	v_cmp_eq_u32_e64 s[16:17], 5, v48
	v_cndmask_b32_e64 v3, v3, v49, s[30:31]
	v_cmp_eq_u32_e64 s[18:19], 6, v48
	v_cndmask_b32_e64 v3, v3, v50, s[34:35]
	v_cndmask_b32_e64 v3, v3, v14, s[36:37]
	v_cndmask_b32_e64 v3, v3, v16, s[38:39]
	;; [unrolled: 1-line block ×11, first 2 shown]
	s_waitcnt vmcnt(0)
	buffer_store_dword v1, off, s[0:3], 0 offset:252
	v_cndmask_b32_e64 v1, v41, v42, s[8:9]
	v_cndmask_b32_e64 v1, v1, v43, s[10:11]
	;; [unrolled: 1-line block ×16, first 2 shown]
	v_add_f64 v[5:6], -v[1:2], 0
	v_add_f64 v[7:8], v[3:4], -v[1:2]
	v_div_scale_f64 v[9:10], s[44:45], v[7:8], v[7:8], v[5:6]
	v_rcp_f64_e32 v[11:12], v[9:10]
	v_fma_f64 v[55:56], -v[9:10], v[11:12], 1.0
	v_fma_f64 v[11:12], v[11:12], v[55:56], v[11:12]
	v_fma_f64 v[55:56], -v[9:10], v[11:12], 1.0
	v_fma_f64 v[11:12], v[11:12], v[55:56], v[11:12]
	v_div_scale_f64 v[55:56], vcc, v[5:6], v[7:8], v[5:6]
	v_mul_f64 v[74:75], v[55:56], v[11:12]
	v_fma_f64 v[9:10], -v[9:10], v[74:75], v[55:56]
	s_nop 1
	v_div_fmas_f64 v[9:10], v[9:10], v[11:12], v[74:75]
	v_cmp_eq_u32_e32 vcc, 8, v47
	v_div_fixup_f64 v[5:6], v[9:10], v[7:8], v[5:6]
	v_cndmask_b32_e64 v7, v61, v66, s[24:25]
	v_cndmask_b32_e64 v7, v7, v67, s[26:27]
	;; [unrolled: 1-line block ×32, first 2 shown]
	v_add_f64 v[7:8], -v[5:6], 1.0
	v_cmp_eq_u32_e64 s[22:23], 0, v47
	v_cmp_eq_u32_e64 s[8:9], 7, v47
	;; [unrolled: 1-line block ×7, first 2 shown]
	v_mul_f64 v[11:12], v[7:8], v[11:12]
	v_cmp_eq_u32_e64 s[20:21], 1, v47
	v_mul_f64 v[1:2], v[1:2], v[7:8]
	v_fma_f64 v[9:10], v[5:6], v[9:10], v[11:12]
	v_fma_f64 v[1:2], v[3:4], v[5:6], v[1:2]
	v_cndmask_b32_e64 v62, v61, v10, s[22:23]
	v_cndmask_b32_e64 v61, v52, v9, s[22:23]
	v_lshlrev_b32_e32 v52, 3, v48
	v_cndmask_b32_e32 v60, v60, v9, vcc
	v_cndmask_b32_e64 v75, v69, v10, s[8:9]
	v_cndmask_b32_e64 v63, v63, v9, s[8:9]
	;; [unrolled: 1-line block ×8, first 2 shown]
	v_mov_b32_e32 v9, v51
	v_mov_b32_e32 v11, v52
	v_cndmask_b32_e32 v83, v71, v10, vcc
	v_cndmask_b32_e64 v76, v68, v10, s[10:11]
	v_cndmask_b32_e64 v59, v59, v10, s[12:13]
	v_cndmask_b32_e64 v22, v22, v10, s[14:15]
	v_cndmask_b32_e64 v20, v20, v10, s[16:17]
	v_cndmask_b32_e64 v80, v67, v10, s[18:19]
	v_cndmask_b32_e64 v82, v66, v10, s[20:21]
	buffer_load_dword v10, v9, s[0:3], 0 offen offset:4
	s_nop 0
	buffer_load_dword v9, v9, s[0:3], 0 offen
	s_nop 0
	buffer_load_dword v12, v11, s[0:3], 0 offen offset:4
	s_nop 0
	buffer_load_dword v11, v11, s[0:3], 0 offen
	v_lshlrev_b32_e32 v48, 3, v47
	v_cndmask_b32_e32 v18, v18, v2, vcc
	v_cndmask_b32_e32 v17, v17, v1, vcc
	v_cndmask_b32_e64 v16, v16, v2, s[8:9]
	v_cndmask_b32_e64 v15, v15, v1, s[8:9]
	;; [unrolled: 1-line block ×6, first 2 shown]
	s_waitcnt vmcnt(0)
	v_mul_f64 v[11:12], v[7:8], v[11:12]
	v_fma_f64 v[9:10], v[5:6], v[9:10], v[11:12]
	v_mov_b32_e32 v11, v48
	buffer_store_dword v9, v11, s[0:3], 0 offen
	buffer_store_dword v10, v11, s[0:3], 0 offen offset:4
	v_add_u32_e32 v9, 0x50, v51
	v_add_u32_e32 v11, 0x50, v52
	buffer_load_dword v10, v9, s[0:3], 0 offen offset:4
	s_nop 0
	buffer_load_dword v9, v9, s[0:3], 0 offen
	s_nop 0
	buffer_load_dword v12, v11, s[0:3], 0 offen offset:4
	s_nop 0
	buffer_load_dword v11, v11, s[0:3], 0 offen
	s_waitcnt vmcnt(0)
	v_mul_f64 v[11:12], v[7:8], v[11:12]
	v_cndmask_b32_e64 v8, v44, v2, s[16:17]
	v_cndmask_b32_e64 v7, v38, v1, s[16:17]
	v_fma_f64 v[9:10], v[5:6], v[9:10], v[11:12]
	v_add_u32_e32 v11, 0x50, v48
	buffer_store_dword v9, v11, s[0:3], 0 offen
	buffer_store_dword v10, v11, s[0:3], 0 offen offset:4
	v_cndmask_b32_e64 v12, v50, v2, s[12:13]
	v_cndmask_b32_e64 v11, v40, v1, s[12:13]
	;; [unrolled: 1-line block ×8, first 2 shown]
	v_mov_b32_e32 v35, v73
.LBB0_105:
	s_or_b64 exec, exec, s[42:43]
	v_mov_b32_e32 v36, -1
	buffer_store_dword v36, off, s[0:3], 0 offset:248
	s_and_saveexec_b64 s[20:21], s[4:5]
	s_cbranch_execz .LBB0_114
; %bb.106:
	s_mov_b64 s[22:23], 0
	s_branch .LBB0_108
.LBB0_107:                              ;   in Loop: Header=BB0_108 Depth=1
	s_or_b64 exec, exec, s[8:9]
	s_waitcnt vmcnt(0)
	v_cmp_gt_i32_e32 vcc, 0, v36
	s_or_b64 s[22:23], vcc, s[22:23]
	v_mov_b32_e32 v70, v36
	s_andn2_b64 exec, exec, s[22:23]
	s_cbranch_execz .LBB0_114
.LBB0_108:                              ; =>This Inner Loop Header: Depth=1
	v_mov_b32_e32 v36, 0xa0
	v_lshl_add_u32 v37, v70, 2, v36
	buffer_load_dword v36, v37, s[0:3], 0 offen
	v_cmp_eq_u32_e32 vcc, 1, v70
	v_cndmask_b32_e32 v38, v2, v4, vcc
	v_cmp_eq_u32_e64 s[4:5], 2, v70
	v_cndmask_b32_e64 v38, v38, v6, s[4:5]
	v_cmp_eq_u32_e64 s[8:9], 3, v70
	v_cndmask_b32_e64 v38, v38, v8, s[8:9]
	v_cmp_eq_u32_e64 s[10:11], 4, v70
	v_cndmask_b32_e64 v38, v38, v10, s[10:11]
	v_cmp_eq_u32_e64 s[12:13], 5, v70
	v_cndmask_b32_e64 v38, v38, v12, s[12:13]
	v_cmp_eq_u32_e64 s[14:15], 6, v70
	v_cndmask_b32_e64 v38, v38, v14, s[14:15]
	v_cmp_eq_u32_e64 s[16:17], 7, v70
	v_cndmask_b32_e64 v38, v38, v16, s[16:17]
	v_cmp_eq_u32_e64 s[18:19], 8, v70
	v_cndmask_b32_e64 v39, v38, v18, s[18:19]
	v_cndmask_b32_e32 v38, v1, v3, vcc
	v_cndmask_b32_e64 v38, v38, v5, s[4:5]
	v_cndmask_b32_e64 v38, v38, v7, s[8:9]
	;; [unrolled: 1-line block ×7, first 2 shown]
	v_cmp_ngt_f64_e32 vcc, 0, v[38:39]
	s_mov_b64 s[4:5], 0
	s_and_saveexec_b64 s[8:9], vcc
	s_xor_b64 s[8:9], exec, s[8:9]
	s_cbranch_execnz .LBB0_111
; %bb.109:                              ;   in Loop: Header=BB0_108 Depth=1
	s_or_saveexec_b64 s[8:9], s[8:9]
	v_mov_b32_e32 v38, 0xf8
	s_xor_b64 exec, exec, s[8:9]
	s_cbranch_execnz .LBB0_112
.LBB0_110:                              ;   in Loop: Header=BB0_108 Depth=1
	s_or_b64 exec, exec, s[8:9]
	s_and_saveexec_b64 s[8:9], s[4:5]
	s_cbranch_execz .LBB0_107
	s_branch .LBB0_113
.LBB0_111:                              ;   in Loop: Header=BB0_108 Depth=1
	buffer_load_dword v37, off, s[0:3], 0 offset:248
	s_waitcnt vmcnt(0)
	v_cmp_eq_u32_e32 vcc, -1, v37
	s_and_b64 s[4:5], vcc, exec
                                        ; implicit-def: $vgpr37
	s_or_saveexec_b64 s[8:9], s[8:9]
	v_mov_b32_e32 v38, 0xf8
	s_xor_b64 exec, exec, s[8:9]
	s_cbranch_execz .LBB0_110
.LBB0_112:                              ;   in Loop: Header=BB0_108 Depth=1
	buffer_load_dword v38, off, s[0:3], 0 offset:252
	s_or_b64 s[4:5], s[4:5], exec
	s_waitcnt vmcnt(0)
	buffer_store_dword v38, v37, s[0:3], 0 offen
	v_bfrev_b32_e32 v38, 0.5
	s_or_b64 exec, exec, s[8:9]
	s_and_saveexec_b64 s[8:9], s[4:5]
	s_cbranch_execz .LBB0_107
.LBB0_113:                              ;   in Loop: Header=BB0_108 Depth=1
	buffer_store_dword v70, v38, s[0:3], 0 offen
	s_branch .LBB0_107
.LBB0_114:
	s_or_b64 exec, exec, s[20:21]
	s_and_saveexec_b64 s[4:5], s[6:7]
	s_cbranch_execz .LBB0_116
; %bb.115:
	v_max_f64 v[1:2], v[31:32], v[31:32]
	v_max_f64 v[3:4], v[33:34], v[33:34]
	v_min_f64 v[1:2], v[3:4], v[1:2]
	v_mov_b32_e32 v3, 0xa0
	v_lshl_add_u32 v4, v45, 2, v3
	v_lshl_add_u32 v5, v35, 2, v3
	v_lshl_add_u32 v3, v47, 2, v3
	buffer_store_dword v35, v4, s[0:3], 0 offen
	v_cmp_ngt_f64_e32 vcc, 0, v[1:2]
	v_cndmask_b32_e32 v1, -1, v46, vcc
	buffer_store_dword v47, v5, s[0:3], 0 offen
	buffer_store_dword v1, v3, s[0:3], 0 offen
.LBB0_116:
	s_or_b64 exec, exec, s[4:5]
	buffer_load_dword v5, off, s[0:3], 0 offset:248
	s_waitcnt vmcnt(0)
	v_cmp_lt_i32_e32 vcc, -1, v5
	s_and_saveexec_b64 s[18:19], vcc
	s_cbranch_execz .LBB0_119
; %bb.117:
	s_mov_b64 s[20:21], 0
	v_mov_b32_e32 v1, 0xa0
	v_mov_b32_e32 v2, v5
.LBB0_118:                              ; =>This Inner Loop Header: Depth=1
	v_cmp_eq_u32_e32 vcc, 1, v2
	v_cndmask_b32_e32 v3, v62, v82, vcc
	v_lshlrev_b32_e32 v8, 3, v2
	v_cmp_eq_u32_e64 s[4:5], 2, v2
	v_cndmask_b32_e64 v3, v3, v80, s[4:5]
	v_mov_b32_e32 v4, v8
	v_cmp_eq_u32_e64 s[6:7], 3, v2
	v_cndmask_b32_e64 v7, v3, v20, s[6:7]
	buffer_load_dword v3, v4, s[0:3], 0 offen
	s_nop 0
	buffer_load_dword v4, v4, s[0:3], 0 offen offset:4
	v_lshl_add_u32 v6, v2, 2, v1
	v_cmp_eq_u32_e64 s[8:9], 4, v2
	v_cmp_eq_u32_e64 s[10:11], 5, v2
	;; [unrolled: 1-line block ×5, first 2 shown]
	buffer_load_dword v2, v6, s[0:3], 0 offen
	v_cndmask_b32_e32 v6, v61, v81, vcc
	v_cndmask_b32_e64 v6, v6, v79, s[4:5]
	v_cndmask_b32_e64 v6, v6, v19, s[6:7]
	v_cndmask_b32_e64 v7, v7, v22, s[8:9]
	v_cndmask_b32_e64 v6, v6, v21, s[8:9]
	v_cndmask_b32_e64 v7, v7, v59, s[10:11]
	v_cndmask_b32_e64 v6, v6, v69, s[10:11]
	v_cndmask_b32_e64 v7, v7, v76, s[12:13]
	v_cndmask_b32_e64 v6, v6, v64, s[12:13]
	v_cndmask_b32_e64 v7, v7, v75, s[14:15]
	v_cndmask_b32_e64 v6, v6, v63, s[14:15]
	v_cndmask_b32_e64 v7, v7, v83, s[16:17]
	v_cndmask_b32_e64 v6, v6, v60, s[16:17]
	v_add_f64 v[6:7], -v[6:7], 1.0
	s_waitcnt vmcnt(1)
	v_add_f64 v[3:4], v[6:7], -v[3:4]
	v_add_u32_e32 v6, 0x50, v8
	buffer_store_dword v4, v6, s[0:3], 0 offen offset:4
	buffer_store_dword v3, v6, s[0:3], 0 offen
	s_waitcnt vmcnt(2)
	v_cmp_gt_i32_e32 vcc, 0, v2
	s_or_b64 s[20:21], vcc, s[20:21]
	s_andn2_b64 exec, exec, s[20:21]
	s_cbranch_execnz .LBB0_118
.LBB0_119:
	s_or_b64 exec, exec, s[18:19]
	v_cmp_lt_i32_e32 vcc, -1, v5
	s_and_saveexec_b64 s[18:19], vcc
	s_cbranch_execz .LBB0_125
; %bb.120:
	v_mov_b32_e32 v39, 0xa0
	v_lshl_add_u32 v1, v5, 2, v39
	buffer_load_dword v7, v1, s[0:3], 0 offen
	s_waitcnt vmcnt(0)
	v_lshl_add_u32 v1, v7, 2, v39
	buffer_load_dword v40, v1, s[0:3], 0 offen
	s_waitcnt vmcnt(0)
	v_cmp_lt_i32_e32 vcc, -1, v40
	s_and_saveexec_b64 s[20:21], vcc
	s_cbranch_execz .LBB0_124
; %bb.121:
	v_lshlrev_b32_e32 v3, 3, v5
	v_mov_b32_e32 v2, v3
	v_lshlrev_b32_e32 v4, 3, v7
	v_mov_b32_e32 v6, v4
	buffer_load_dword v1, v2, s[0:3], 0 offen
	s_nop 0
	buffer_load_dword v2, v2, s[0:3], 0 offen offset:4
	s_nop 0
	buffer_load_dword v17, v6, s[0:3], 0 offen
	buffer_load_dword v18, v6, s[0:3], 0 offen offset:4
	v_add_u32_e32 v6, 0x50, v3
	v_add_u32_e32 v4, 0x50, v4
	buffer_load_dword v3, v6, s[0:3], 0 offen
	buffer_load_dword v31, v4, s[0:3], 0 offen
	buffer_load_dword v32, v4, s[0:3], 0 offen offset:4
	s_nop 0
	buffer_load_dword v4, v6, s[0:3], 0 offen offset:4
	v_cmp_eq_u32_e32 vcc, 1, v5
	v_cmp_eq_u32_e64 s[4:5], 1, v7
	v_cndmask_b32_e32 v6, v62, v82, vcc
	v_cndmask_b32_e64 v8, v62, v82, s[4:5]
	v_cmp_eq_u32_e64 s[6:7], 2, v5
	v_cndmask_b32_e32 v9, v61, v81, vcc
	v_cmp_eq_u32_e32 vcc, 2, v7
	v_cndmask_b32_e64 v10, v61, v81, s[4:5]
	v_cndmask_b32_e64 v6, v6, v80, s[6:7]
	v_cndmask_b32_e32 v8, v8, v80, vcc
	v_cmp_eq_u32_e64 s[4:5], 3, v5
	v_cndmask_b32_e64 v9, v9, v79, s[6:7]
	v_cmp_eq_u32_e64 s[6:7], 3, v7
	v_cndmask_b32_e32 v10, v10, v79, vcc
	v_cndmask_b32_e64 v6, v6, v20, s[4:5]
	v_cndmask_b32_e64 v8, v8, v20, s[6:7]
	v_cmp_eq_u32_e32 vcc, 4, v5
	v_cndmask_b32_e64 v9, v9, v19, s[4:5]
	v_cmp_eq_u32_e64 s[4:5], 4, v7
	v_cndmask_b32_e64 v10, v10, v19, s[6:7]
	v_cndmask_b32_e32 v6, v6, v22, vcc
	v_cndmask_b32_e64 v8, v8, v22, s[4:5]
	v_cmp_eq_u32_e64 s[6:7], 5, v5
	v_cndmask_b32_e32 v9, v9, v21, vcc
	v_cmp_eq_u32_e32 vcc, 5, v7
	v_cndmask_b32_e64 v10, v10, v21, s[4:5]
	v_cndmask_b32_e64 v6, v6, v59, s[6:7]
	v_cndmask_b32_e32 v8, v8, v59, vcc
	v_cmp_eq_u32_e64 s[4:5], 6, v5
	v_cndmask_b32_e64 v9, v9, v69, s[6:7]
	v_cmp_eq_u32_e64 s[6:7], 6, v7
	v_cndmask_b32_e32 v10, v10, v69, vcc
	v_cndmask_b32_e64 v6, v6, v76, s[4:5]
	v_cndmask_b32_e64 v8, v8, v76, s[6:7]
	v_cmp_eq_u32_e32 vcc, 7, v5
	v_cndmask_b32_e64 v9, v9, v64, s[4:5]
	v_cmp_eq_u32_e64 s[4:5], 7, v7
	v_cndmask_b32_e64 v10, v10, v64, s[6:7]
	v_cndmask_b32_e32 v6, v6, v75, vcc
	v_cndmask_b32_e64 v8, v8, v75, s[4:5]
	v_cmp_eq_u32_e64 s[6:7], 8, v5
	v_cndmask_b32_e32 v5, v9, v63, vcc
	v_cmp_eq_u32_e32 vcc, 8, v7
	v_cndmask_b32_e64 v7, v10, v63, s[4:5]
	v_cndmask_b32_e64 v6, v6, v83, s[6:7]
	v_cndmask_b32_e32 v34, v8, v83, vcc
	v_cndmask_b32_e64 v5, v5, v60, s[6:7]
	v_cndmask_b32_e32 v33, v7, v60, vcc
	v_add_f64 v[35:36], v[33:34], -v[5:6]
	s_mov_b64 s[22:23], 0
	s_waitcnt vmcnt(4)
	v_add_f64 v[37:38], v[17:18], -v[1:2]
.LBB0_122:                              ; =>This Inner Loop Header: Depth=1
	v_lshlrev_b32_e32 v9, 3, v40
	v_mov_b32_e32 v10, v9
	buffer_load_dword v13, v10, s[0:3], 0 offen
	buffer_load_dword v14, v10, s[0:3], 0 offen offset:4
	v_add_u32_e32 v9, 0x50, v9
	buffer_load_dword v15, v9, s[0:3], 0 offen
	buffer_load_dword v16, v9, s[0:3], 0 offen offset:4
	v_cmp_eq_u32_e32 vcc, 1, v40
	v_cndmask_b32_e32 v7, v62, v82, vcc
	v_cmp_eq_u32_e64 s[4:5], 2, v40
	v_cndmask_b32_e64 v7, v7, v80, s[4:5]
	v_cmp_eq_u32_e64 s[6:7], 3, v40
	v_cndmask_b32_e64 v7, v7, v20, s[6:7]
	;; [unrolled: 2-line block ×7, first 2 shown]
	v_cndmask_b32_e32 v7, v61, v81, vcc
	v_cndmask_b32_e64 v7, v7, v79, s[4:5]
	v_cndmask_b32_e64 v7, v7, v19, s[6:7]
	;; [unrolled: 1-line block ×7, first 2 shown]
	v_add_f64 v[9:10], v[7:8], -v[5:6]
	s_waitcnt vmcnt(4)
	v_mul_f64 v[43:44], v[5:6], v[3:4]
	v_mul_f64 v[37:38], v[37:38], v[9:10]
	s_waitcnt vmcnt(2)
	v_add_f64 v[11:12], v[13:14], -v[1:2]
	v_fma_f64 v[35:36], v[35:36], v[11:12], -v[37:38]
	v_add_f64 v[37:38], v[3:4], v[31:32]
	s_waitcnt vmcnt(0)
	v_add_f64 v[37:38], v[37:38], v[15:16]
	v_mul_f64 v[41:42], v[37:38], v[35:36]
	v_fma_f64 v[27:28], v[37:38], v[35:36], v[27:28]
	v_add_f64 v[37:38], v[5:6], v[33:34]
	v_fma_f64 v[33:34], v[33:34], v[31:32], v[43:44]
	v_add_f64 v[37:38], v[37:38], v[7:8]
	v_fma_f64 v[33:34], v[7:8], v[15:16], v[33:34]
	v_mul_f64 v[37:38], v[37:38], v[41:42]
	v_fma_f64 v[33:34], v[35:36], v[33:34], v[37:38]
	v_mul_f64 v[37:38], v[1:2], v[3:4]
	v_add_f64 v[29:30], v[29:30], v[33:34]
	v_add_f64 v[33:34], v[1:2], v[17:18]
	v_fma_f64 v[17:18], v[17:18], v[31:32], v[37:38]
	v_mov_b32_e32 v38, v12
	v_mov_b32_e32 v37, v11
	v_add_f64 v[33:34], v[33:34], v[13:14]
	v_fma_f64 v[17:18], v[13:14], v[15:16], v[17:18]
	v_mul_f64 v[33:34], v[33:34], v[41:42]
	v_fma_f64 v[17:18], v[35:36], v[17:18], v[33:34]
	v_mov_b32_e32 v34, v8
	v_mov_b32_e32 v33, v7
	v_add_f64 v[25:26], v[25:26], v[17:18]
	v_mul_f64 v[17:18], v[3:4], v[3:4]
	v_fma_f64 v[17:18], v[31:32], v[31:32], v[17:18]
	v_fma_f64 v[17:18], v[15:16], v[15:16], v[17:18]
	;; [unrolled: 1-line block ×5, first 2 shown]
	v_mov_b32_e32 v32, v16
	v_mov_b32_e32 v31, v15
	v_fma_f64 v[23:24], v[35:36], v[17:18], v[23:24]
	v_lshl_add_u32 v17, v40, 2, v39
	buffer_load_dword v40, v17, s[0:3], 0 offen
	v_mov_b32_e32 v18, v14
	v_mov_b32_e32 v36, v10
	;; [unrolled: 1-line block ×4, first 2 shown]
	s_waitcnt vmcnt(0)
	v_cmp_gt_i32_e32 vcc, 0, v40
	s_or_b64 s[22:23], vcc, s[22:23]
	s_andn2_b64 exec, exec, s[22:23]
	s_cbranch_execnz .LBB0_122
; %bb.123:
	s_or_b64 exec, exec, s[22:23]
.LBB0_124:
	s_or_b64 exec, exec, s[20:21]
.LBB0_125:
	s_or_b64 exec, exec, s[18:19]
	buffer_load_dword v5, off, s[0:3], 0 offset:312 ; 4-byte Folded Reload
	buffer_load_dword v6, off, s[0:3], 0 offset:316 ; 4-byte Folded Reload
	buffer_load_dword v7, off, s[0:3], 0 offset:352 ; 4-byte Folded Reload
	buffer_load_dword v8, off, s[0:3], 0 offset:356 ; 4-byte Folded Reload
	buffer_load_dword v9, off, s[0:3], 0 offset:344 ; 4-byte Folded Reload
	buffer_load_dword v10, off, s[0:3], 0 offset:348 ; 4-byte Folded Reload
	buffer_load_dword v11, off, s[0:3], 0 offset:272 ; 4-byte Folded Reload
	buffer_load_dword v12, off, s[0:3], 0 offset:276 ; 4-byte Folded Reload
	buffer_load_dword v13, off, s[0:3], 0 offset:280 ; 4-byte Folded Reload
	buffer_load_dword v14, off, s[0:3], 0 offset:284 ; 4-byte Folded Reload
	s_mov_b32 s5, 0x3fc55555
	s_mov_b32 s4, 0x55555555
	v_mul_f64 v[1:2], v[27:28], s[4:5]
	s_mov_b32 s5, 0x3fa55555
	v_mul_f64 v[3:4], v[29:30], s[4:5]
	s_waitcnt vmcnt(8)
	v_mul_f64 v[5:6], v[5:6], v[3:4]
	s_waitcnt vmcnt(6)
	;; [unrolled: 2-line block ×3, first 2 shown]
	v_mul_f64 v[3:4], v[9:10], v[3:4]
	v_mul_f64 v[9:10], v[25:26], s[4:5]
	v_fma_f64 v[5:6], v[77:78], v[1:2], v[5:6]
	s_waitcnt vmcnt(0)
	v_fma_f64 v[7:8], v[13:14], v[1:2], v[7:8]
	buffer_load_dword v11, off, s[0:3], 0 offset:256 ; 4-byte Folded Reload
	buffer_load_dword v12, off, s[0:3], 0 offset:260 ; 4-byte Folded Reload
	;; [unrolled: 1-line block ×4, first 2 shown]
	s_waitcnt vmcnt(2)
	v_mul_f64 v[11:12], v[23:24], s[4:5]
	s_waitcnt vmcnt(0)
	v_fma_f64 v[3:4], v[13:14], v[1:2], v[3:4]
	buffer_load_dword v13, off, s[0:3], 0 offset:328 ; 4-byte Folded Reload
	buffer_load_dword v14, off, s[0:3], 0 offset:332 ; 4-byte Folded Reload
	s_waitcnt vmcnt(0)
	v_fma_f64 v[5:6], v[13:14], v[9:10], v[5:6]
	buffer_load_dword v13, off, s[0:3], 0 offset:304 ; 4-byte Folded Reload
	buffer_load_dword v14, off, s[0:3], 0 offset:308 ; 4-byte Folded Reload
	;; [unrolled: 4-line block ×7, first 2 shown]
	s_waitcnt vmcnt(0)
	v_fma_f64 v[17:18], v[9:10], v[5:6], 0
	v_fma_f64 v[21:22], v[9:10], v[7:8], 0
	;; [unrolled: 1-line block ×4, first 2 shown]
.LBB0_126:
	s_or_b64 exec, exec, s[62:63]
	s_movk_i32 s6, 0x48
	v_mad_u64_u32 v[9:10], s[4:5], v57, s6, 0
	v_mov_b32_e32 v1, 0
	v_mov_b32_e32 v5, v17
	;; [unrolled: 1-line block ×3, first 2 shown]
	v_mad_u64_u32 v[10:11], s[4:5], v58, s6, v[3:4]
	v_mov_b32_e32 v3, v23
	v_mov_b32_e32 v7, v21
	v_cmp_lt_u64_e32 vcc, s[60:61], v[9:10]
	v_mov_b32_e32 v9, 0
	v_mov_b32_e32 v11, 0
	;; [unrolled: 1-line block ×12, first 2 shown]
	s_and_saveexec_b64 s[4:5], vcc
	s_cbranch_execz .LBB0_128
; %bb.127:
	v_mov_b32_e32 v3, 0
	v_mov_b32_e32 v5, 0
	;; [unrolled: 1-line block ×16, first 2 shown]
.LBB0_128:
	s_or_b64 exec, exec, s[4:5]
	v_mbcnt_lo_u32_b32 v17, -1, 0
	v_mbcnt_hi_u32_b32 v17, -1, v17
	v_and_b32_e32 v18, 64, v17
	v_add_u32_e32 v18, 64, v18
	s_mov_b64 s[4:5], 1
	; wave barrier
.LBB0_129:                              ; =>This Inner Loop Header: Depth=1
	v_xor_b32_e32 v19, s4, v17
	v_cmp_lt_i32_e32 vcc, v19, v18
	v_cndmask_b32_e32 v19, v17, v19, vcc
	v_lshlrev_b32_e32 v34, 2, v19
	ds_bpermute_b32 v19, v34, v15
	ds_bpermute_b32 v20, v34, v16
	;; [unrolled: 1-line block ×16, first 2 shown]
	s_waitcnt lgkmcnt(14)
	v_add_f64 v[15:16], v[15:16], v[19:20]
	s_waitcnt lgkmcnt(12)
	v_add_f64 v[11:12], v[11:12], v[21:22]
	;; [unrolled: 2-line block ×8, first 2 shown]
	v_cmp_gt_u64_e64 s[8:9], s[4:5], 31
	s_lshl_b64 s[6:7], s[4:5], 1
	s_mov_b64 s[4:5], s[6:7]
	s_and_b64 vcc, exec, s[8:9]
	s_cbranch_vccz .LBB0_129
; %bb.130:
	v_cmp_eq_u32_e32 vcc, 0, v0
	s_and_saveexec_b64 s[4:5], vcc
	s_cbranch_execz .LBB0_132
; %bb.131:
	v_lshrrev_b32_e32 v17, 3, v0
	ds_write2_b64 v17, v[3:4], v[5:6] offset1:2
	ds_write2_b64 v17, v[7:8], v[13:14] offset0:4 offset1:6
	ds_write2_b64 v17, v[15:16], v[11:12] offset0:8 offset1:10
	;; [unrolled: 1-line block ×3, first 2 shown]
.LBB0_132:
	s_or_b64 exec, exec, s[4:5]
	v_cmp_gt_u32_e32 vcc, 8, v0
	s_waitcnt lgkmcnt(0)
	; wave barrier
	s_and_saveexec_b64 s[4:5], vcc
	s_cbranch_execz .LBB0_134
; %bb.133:
	v_lshlrev_b32_e32 v1, 4, v0
	ds_read_b64 v[1:2], v1
	s_add_u32 s4, s58, s60
	s_addc_u32 s5, s59, s61
	v_lshlrev_b32_e32 v0, 3, v0
	s_waitcnt lgkmcnt(0)
	global_store_dwordx2 v0, v[1:2], s[4:5]
.LBB0_134:
	s_endpgm
	.section	.rodata,"a",@progbits
	.p2align	6, 0x0
	.amdhsa_kernel _ZN8rajaperf4apps16intsc_hexhex_hipILm64EEEvPdS2_mS2_
		.amdhsa_group_segment_fixed_size 128
		.amdhsa_private_segment_fixed_size 384
		.amdhsa_kernarg_size 32
		.amdhsa_user_sgpr_count 6
		.amdhsa_user_sgpr_private_segment_buffer 1
		.amdhsa_user_sgpr_dispatch_ptr 0
		.amdhsa_user_sgpr_queue_ptr 0
		.amdhsa_user_sgpr_kernarg_segment_ptr 1
		.amdhsa_user_sgpr_dispatch_id 0
		.amdhsa_user_sgpr_flat_scratch_init 0
		.amdhsa_user_sgpr_private_segment_size 0
		.amdhsa_uses_dynamic_stack 0
		.amdhsa_system_sgpr_private_segment_wavefront_offset 1
		.amdhsa_system_sgpr_workgroup_id_x 1
		.amdhsa_system_sgpr_workgroup_id_y 0
		.amdhsa_system_sgpr_workgroup_id_z 0
		.amdhsa_system_sgpr_workgroup_info 0
		.amdhsa_system_vgpr_workitem_id 0
		.amdhsa_next_free_vgpr 84
		.amdhsa_next_free_sgpr 66
		.amdhsa_reserve_vcc 1
		.amdhsa_reserve_flat_scratch 0
		.amdhsa_float_round_mode_32 0
		.amdhsa_float_round_mode_16_64 0
		.amdhsa_float_denorm_mode_32 3
		.amdhsa_float_denorm_mode_16_64 3
		.amdhsa_dx10_clamp 1
		.amdhsa_ieee_mode 1
		.amdhsa_fp16_overflow 0
		.amdhsa_exception_fp_ieee_invalid_op 0
		.amdhsa_exception_fp_denorm_src 0
		.amdhsa_exception_fp_ieee_div_zero 0
		.amdhsa_exception_fp_ieee_overflow 0
		.amdhsa_exception_fp_ieee_underflow 0
		.amdhsa_exception_fp_ieee_inexact 0
		.amdhsa_exception_int_div_zero 0
	.end_amdhsa_kernel
	.section	.text._ZN8rajaperf4apps16intsc_hexhex_hipILm64EEEvPdS2_mS2_,"axG",@progbits,_ZN8rajaperf4apps16intsc_hexhex_hipILm64EEEvPdS2_mS2_,comdat
.Lfunc_end0:
	.size	_ZN8rajaperf4apps16intsc_hexhex_hipILm64EEEvPdS2_mS2_, .Lfunc_end0-_ZN8rajaperf4apps16intsc_hexhex_hipILm64EEEvPdS2_mS2_
                                        ; -- End function
	.set _ZN8rajaperf4apps16intsc_hexhex_hipILm64EEEvPdS2_mS2_.num_vgpr, 84
	.set _ZN8rajaperf4apps16intsc_hexhex_hipILm64EEEvPdS2_mS2_.num_agpr, 0
	.set _ZN8rajaperf4apps16intsc_hexhex_hipILm64EEEvPdS2_mS2_.numbered_sgpr, 66
	.set _ZN8rajaperf4apps16intsc_hexhex_hipILm64EEEvPdS2_mS2_.num_named_barrier, 0
	.set _ZN8rajaperf4apps16intsc_hexhex_hipILm64EEEvPdS2_mS2_.private_seg_size, 384
	.set _ZN8rajaperf4apps16intsc_hexhex_hipILm64EEEvPdS2_mS2_.uses_vcc, 1
	.set _ZN8rajaperf4apps16intsc_hexhex_hipILm64EEEvPdS2_mS2_.uses_flat_scratch, 0
	.set _ZN8rajaperf4apps16intsc_hexhex_hipILm64EEEvPdS2_mS2_.has_dyn_sized_stack, 0
	.set _ZN8rajaperf4apps16intsc_hexhex_hipILm64EEEvPdS2_mS2_.has_recursion, 0
	.set _ZN8rajaperf4apps16intsc_hexhex_hipILm64EEEvPdS2_mS2_.has_indirect_call, 0
	.section	.AMDGPU.csdata,"",@progbits
; Kernel info:
; codeLenInByte = 27912
; TotalNumSgprs: 70
; NumVgprs: 84
; ScratchSize: 384
; MemoryBound: 0
; FloatMode: 240
; IeeeMode: 1
; LDSByteSize: 128 bytes/workgroup (compile time only)
; SGPRBlocks: 8
; VGPRBlocks: 20
; NumSGPRsForWavesPerEU: 70
; NumVGPRsForWavesPerEU: 84
; Occupancy: 3
; WaveLimiterHint : 0
; COMPUTE_PGM_RSRC2:SCRATCH_EN: 1
; COMPUTE_PGM_RSRC2:USER_SGPR: 6
; COMPUTE_PGM_RSRC2:TRAP_HANDLER: 0
; COMPUTE_PGM_RSRC2:TGID_X_EN: 1
; COMPUTE_PGM_RSRC2:TGID_Y_EN: 0
; COMPUTE_PGM_RSRC2:TGID_Z_EN: 0
; COMPUTE_PGM_RSRC2:TIDIG_COMP_CNT: 0
	.section	.text._ZN8rajaperf4apps32intsc_hexhex_hip_fixup_vv_64to72ILm64EEEvPdmS2_,"axG",@progbits,_ZN8rajaperf4apps32intsc_hexhex_hip_fixup_vv_64to72ILm64EEEvPdmS2_,comdat
	.protected	_ZN8rajaperf4apps32intsc_hexhex_hip_fixup_vv_64to72ILm64EEEvPdmS2_ ; -- Begin function _ZN8rajaperf4apps32intsc_hexhex_hip_fixup_vv_64to72ILm64EEEvPdmS2_
	.globl	_ZN8rajaperf4apps32intsc_hexhex_hip_fixup_vv_64to72ILm64EEEvPdmS2_
	.p2align	8
	.type	_ZN8rajaperf4apps32intsc_hexhex_hip_fixup_vv_64to72ILm64EEEvPdmS2_,@function
_ZN8rajaperf4apps32intsc_hexhex_hip_fixup_vv_64to72ILm64EEEvPdmS2_: ; @_ZN8rajaperf4apps32intsc_hexhex_hip_fixup_vv_64to72ILm64EEEvPdmS2_
; %bb.0:
	s_load_dwordx4 s[0:3], s[4:5], 0x0
	s_load_dwordx2 s[8:9], s[4:5], 0x10
	v_lshl_add_u32 v3, s6, 6, v0
	v_ashrrev_i32_e32 v4, 31, v3
	v_lshlrev_b64 v[6:7], 8, v[3:4]
	s_waitcnt lgkmcnt(0)
	v_mov_b32_e32 v1, s0
	v_mov_b32_e32 v2, s1
	s_movk_i32 s0, 0x240
	v_lshlrev_b64 v[4:5], 3, v[3:4]
	v_mad_i64_i32 v[2:3], s[0:1], v3, s0, v[1:2]
	v_mov_b32_e32 v8, s9
	v_cmp_gt_u64_e32 vcc, s[2:3], v[4:5]
	v_add_co_u32_e64 v0, s[0:1], s8, v6
	v_addc_co_u32_e64 v1, s[0:1], v8, v7, s[0:1]
	s_and_saveexec_b64 s[0:1], vcc
	s_cbranch_execz .LBB1_2
; %bb.1:
	global_load_dwordx2 v[6:7], v[2:3], off
	global_load_dwordx2 v[8:9], v[2:3], off offset:64
	s_waitcnt vmcnt(0)
	v_add_f64 v[6:7], v[6:7], v[8:9]
	global_store_dwordx2 v[0:1], v[6:7], off
	global_load_dwordx2 v[6:7], v[2:3], off offset:8
	s_nop 0
	global_load_dwordx2 v[8:9], v[2:3], off offset:72
	s_waitcnt vmcnt(0)
	v_add_f64 v[6:7], v[6:7], v[8:9]
	global_store_dwordx2 v[0:1], v[6:7], off offset:8
	global_load_dwordx2 v[6:7], v[2:3], off offset:16
	s_nop 0
	global_load_dwordx2 v[8:9], v[2:3], off offset:80
	s_waitcnt vmcnt(0)
	v_add_f64 v[6:7], v[6:7], v[8:9]
	global_store_dwordx2 v[0:1], v[6:7], off offset:16
	;; [unrolled: 6-line block ×3, first 2 shown]
.LBB1_2:
	s_or_b64 exec, exec, s[0:1]
	v_or_b32_e32 v6, 1, v4
	v_mov_b32_e32 v7, v5
	v_cmp_gt_u64_e32 vcc, s[2:3], v[6:7]
	s_and_saveexec_b64 s[0:1], vcc
	s_cbranch_execz .LBB1_4
; %bb.3:
	global_load_dwordx2 v[6:7], v[2:3], off offset:96
	global_load_dwordx2 v[8:9], v[2:3], off offset:128
	s_waitcnt vmcnt(0)
	v_add_f64 v[6:7], v[6:7], v[8:9]
	global_store_dwordx2 v[0:1], v[6:7], off offset:32
	global_load_dwordx2 v[6:7], v[2:3], off offset:104
	s_nop 0
	global_load_dwordx2 v[8:9], v[2:3], off offset:136
	s_waitcnt vmcnt(0)
	v_add_f64 v[6:7], v[6:7], v[8:9]
	global_store_dwordx2 v[0:1], v[6:7], off offset:40
	global_load_dwordx2 v[6:7], v[2:3], off offset:112
	s_nop 0
	global_load_dwordx2 v[8:9], v[2:3], off offset:144
	s_waitcnt vmcnt(0)
	v_add_f64 v[6:7], v[6:7], v[8:9]
	global_store_dwordx2 v[0:1], v[6:7], off offset:48
	global_load_dwordx2 v[6:7], v[2:3], off offset:120
	s_nop 0
	global_load_dwordx2 v[8:9], v[2:3], off offset:152
	s_waitcnt vmcnt(0)
	v_add_f64 v[6:7], v[6:7], v[8:9]
	global_store_dwordx2 v[0:1], v[6:7], off offset:56
.LBB1_4:
	s_or_b64 exec, exec, s[0:1]
	v_or_b32_e32 v6, 2, v4
	v_mov_b32_e32 v7, v5
	v_cmp_gt_u64_e32 vcc, s[2:3], v[6:7]
	s_and_saveexec_b64 s[0:1], vcc
	s_cbranch_execz .LBB1_6
; %bb.5:
	global_load_dwordx2 v[6:7], v[2:3], off offset:160
	global_load_dwordx2 v[8:9], v[2:3], off offset:192
	s_waitcnt vmcnt(0)
	v_add_f64 v[6:7], v[6:7], v[8:9]
	global_store_dwordx2 v[0:1], v[6:7], off offset:64
	global_load_dwordx2 v[6:7], v[2:3], off offset:168
	s_nop 0
	global_load_dwordx2 v[8:9], v[2:3], off offset:200
	s_waitcnt vmcnt(0)
	v_add_f64 v[6:7], v[6:7], v[8:9]
	global_store_dwordx2 v[0:1], v[6:7], off offset:72
	global_load_dwordx2 v[6:7], v[2:3], off offset:176
	s_nop 0
	global_load_dwordx2 v[8:9], v[2:3], off offset:208
	s_waitcnt vmcnt(0)
	v_add_f64 v[6:7], v[6:7], v[8:9]
	global_store_dwordx2 v[0:1], v[6:7], off offset:80
	global_load_dwordx2 v[6:7], v[2:3], off offset:184
	s_nop 0
	global_load_dwordx2 v[8:9], v[2:3], off offset:216
	s_waitcnt vmcnt(0)
	v_add_f64 v[6:7], v[6:7], v[8:9]
	global_store_dwordx2 v[0:1], v[6:7], off offset:88
.LBB1_6:
	;; [unrolled: 31-line block ×6, first 2 shown]
	s_or_b64 exec, exec, s[0:1]
	v_or_b32_e32 v4, 7, v4
	v_cmp_gt_u64_e32 vcc, s[2:3], v[4:5]
	s_and_saveexec_b64 s[0:1], vcc
	s_cbranch_execz .LBB1_16
; %bb.15:
	global_load_dwordx2 v[4:5], v[2:3], off offset:480
	global_load_dwordx2 v[6:7], v[2:3], off offset:512
	s_waitcnt vmcnt(0)
	v_add_f64 v[4:5], v[4:5], v[6:7]
	global_store_dwordx2 v[0:1], v[4:5], off offset:224
	global_load_dwordx2 v[4:5], v[2:3], off offset:488
	s_nop 0
	global_load_dwordx2 v[6:7], v[2:3], off offset:520
	s_waitcnt vmcnt(0)
	v_add_f64 v[4:5], v[4:5], v[6:7]
	global_store_dwordx2 v[0:1], v[4:5], off offset:232
	global_load_dwordx2 v[4:5], v[2:3], off offset:496
	s_nop 0
	;; [unrolled: 6-line block ×3, first 2 shown]
	global_load_dwordx2 v[6:7], v[2:3], off offset:536
	s_waitcnt vmcnt(0)
	v_add_f64 v[2:3], v[4:5], v[6:7]
	global_store_dwordx2 v[0:1], v[2:3], off offset:248
.LBB1_16:
	s_endpgm
	.section	.rodata,"a",@progbits
	.p2align	6, 0x0
	.amdhsa_kernel _ZN8rajaperf4apps32intsc_hexhex_hip_fixup_vv_64to72ILm64EEEvPdmS2_
		.amdhsa_group_segment_fixed_size 0
		.amdhsa_private_segment_fixed_size 0
		.amdhsa_kernarg_size 24
		.amdhsa_user_sgpr_count 6
		.amdhsa_user_sgpr_private_segment_buffer 1
		.amdhsa_user_sgpr_dispatch_ptr 0
		.amdhsa_user_sgpr_queue_ptr 0
		.amdhsa_user_sgpr_kernarg_segment_ptr 1
		.amdhsa_user_sgpr_dispatch_id 0
		.amdhsa_user_sgpr_flat_scratch_init 0
		.amdhsa_user_sgpr_private_segment_size 0
		.amdhsa_uses_dynamic_stack 0
		.amdhsa_system_sgpr_private_segment_wavefront_offset 0
		.amdhsa_system_sgpr_workgroup_id_x 1
		.amdhsa_system_sgpr_workgroup_id_y 0
		.amdhsa_system_sgpr_workgroup_id_z 0
		.amdhsa_system_sgpr_workgroup_info 0
		.amdhsa_system_vgpr_workitem_id 0
		.amdhsa_next_free_vgpr 10
		.amdhsa_next_free_sgpr 10
		.amdhsa_reserve_vcc 1
		.amdhsa_reserve_flat_scratch 0
		.amdhsa_float_round_mode_32 0
		.amdhsa_float_round_mode_16_64 0
		.amdhsa_float_denorm_mode_32 3
		.amdhsa_float_denorm_mode_16_64 3
		.amdhsa_dx10_clamp 1
		.amdhsa_ieee_mode 1
		.amdhsa_fp16_overflow 0
		.amdhsa_exception_fp_ieee_invalid_op 0
		.amdhsa_exception_fp_denorm_src 0
		.amdhsa_exception_fp_ieee_div_zero 0
		.amdhsa_exception_fp_ieee_overflow 0
		.amdhsa_exception_fp_ieee_underflow 0
		.amdhsa_exception_fp_ieee_inexact 0
		.amdhsa_exception_int_div_zero 0
	.end_amdhsa_kernel
	.section	.text._ZN8rajaperf4apps32intsc_hexhex_hip_fixup_vv_64to72ILm64EEEvPdmS2_,"axG",@progbits,_ZN8rajaperf4apps32intsc_hexhex_hip_fixup_vv_64to72ILm64EEEvPdmS2_,comdat
.Lfunc_end1:
	.size	_ZN8rajaperf4apps32intsc_hexhex_hip_fixup_vv_64to72ILm64EEEvPdmS2_, .Lfunc_end1-_ZN8rajaperf4apps32intsc_hexhex_hip_fixup_vv_64to72ILm64EEEvPdmS2_
                                        ; -- End function
	.set _ZN8rajaperf4apps32intsc_hexhex_hip_fixup_vv_64to72ILm64EEEvPdmS2_.num_vgpr, 10
	.set _ZN8rajaperf4apps32intsc_hexhex_hip_fixup_vv_64to72ILm64EEEvPdmS2_.num_agpr, 0
	.set _ZN8rajaperf4apps32intsc_hexhex_hip_fixup_vv_64to72ILm64EEEvPdmS2_.numbered_sgpr, 10
	.set _ZN8rajaperf4apps32intsc_hexhex_hip_fixup_vv_64to72ILm64EEEvPdmS2_.num_named_barrier, 0
	.set _ZN8rajaperf4apps32intsc_hexhex_hip_fixup_vv_64to72ILm64EEEvPdmS2_.private_seg_size, 0
	.set _ZN8rajaperf4apps32intsc_hexhex_hip_fixup_vv_64to72ILm64EEEvPdmS2_.uses_vcc, 1
	.set _ZN8rajaperf4apps32intsc_hexhex_hip_fixup_vv_64to72ILm64EEEvPdmS2_.uses_flat_scratch, 0
	.set _ZN8rajaperf4apps32intsc_hexhex_hip_fixup_vv_64to72ILm64EEEvPdmS2_.has_dyn_sized_stack, 0
	.set _ZN8rajaperf4apps32intsc_hexhex_hip_fixup_vv_64to72ILm64EEEvPdmS2_.has_recursion, 0
	.set _ZN8rajaperf4apps32intsc_hexhex_hip_fixup_vv_64to72ILm64EEEvPdmS2_.has_indirect_call, 0
	.section	.AMDGPU.csdata,"",@progbits
; Kernel info:
; codeLenInByte = 1516
; TotalNumSgprs: 14
; NumVgprs: 10
; ScratchSize: 0
; MemoryBound: 1
; FloatMode: 240
; IeeeMode: 1
; LDSByteSize: 0 bytes/workgroup (compile time only)
; SGPRBlocks: 1
; VGPRBlocks: 2
; NumSGPRsForWavesPerEU: 14
; NumVGPRsForWavesPerEU: 10
; Occupancy: 10
; WaveLimiterHint : 1
; COMPUTE_PGM_RSRC2:SCRATCH_EN: 0
; COMPUTE_PGM_RSRC2:USER_SGPR: 6
; COMPUTE_PGM_RSRC2:TRAP_HANDLER: 0
; COMPUTE_PGM_RSRC2:TGID_X_EN: 1
; COMPUTE_PGM_RSRC2:TGID_Y_EN: 0
; COMPUTE_PGM_RSRC2:TGID_Z_EN: 0
; COMPUTE_PGM_RSRC2:TIDIG_COMP_CNT: 0
	.section	.text._ZN8rajaperf17lambda_hip_forallILm64EZNS_4apps12INTSC_HEXHEX17runHipVariantImplILm64EEEvNS_9VariantIDEEUllE_EEvllT0_,"axG",@progbits,_ZN8rajaperf17lambda_hip_forallILm64EZNS_4apps12INTSC_HEXHEX17runHipVariantImplILm64EEEvNS_9VariantIDEEUllE_EEvllT0_,comdat
	.protected	_ZN8rajaperf17lambda_hip_forallILm64EZNS_4apps12INTSC_HEXHEX17runHipVariantImplILm64EEEvNS_9VariantIDEEUllE_EEvllT0_ ; -- Begin function _ZN8rajaperf17lambda_hip_forallILm64EZNS_4apps12INTSC_HEXHEX17runHipVariantImplILm64EEEvNS_9VariantIDEEUllE_EEvllT0_
	.globl	_ZN8rajaperf17lambda_hip_forallILm64EZNS_4apps12INTSC_HEXHEX17runHipVariantImplILm64EEEvNS_9VariantIDEEUllE_EEvllT0_
	.p2align	8
	.type	_ZN8rajaperf17lambda_hip_forallILm64EZNS_4apps12INTSC_HEXHEX17runHipVariantImplILm64EEEvNS_9VariantIDEEUllE_EEvllT0_,@function
_ZN8rajaperf17lambda_hip_forallILm64EZNS_4apps12INTSC_HEXHEX17runHipVariantImplILm64EEEvNS_9VariantIDEEUllE_EEvllT0_: ; @_ZN8rajaperf17lambda_hip_forallILm64EZNS_4apps12INTSC_HEXHEX17runHipVariantImplILm64EEEvNS_9VariantIDEEUllE_EEvllT0_
; %bb.0:
	s_load_dwordx4 s[8:11], s[4:5], 0x0
	s_add_u32 s0, s0, s7
	s_mov_b32 s7, 0
	s_addc_u32 s1, s1, 0
	s_lshl_b64 s[6:7], s[6:7], 6
	s_waitcnt lgkmcnt(0)
	s_add_u32 s6, s8, s6
	s_addc_u32 s7, s9, s7
	v_mov_b32_e32 v1, s7
	v_add_co_u32_e32 v57, vcc, s6, v0
	v_addc_co_u32_e32 v56, vcc, 0, v1, vcc
	v_mov_b32_e32 v58, v56
	v_cmp_gt_i64_e32 vcc, s[10:11], v[57:58]
	v_mov_b32_e32 v1, 0
	s_and_saveexec_b64 s[6:7], vcc
	s_cbranch_execz .LBB2_136
; %bb.1:
	s_mov_b32 s8, 0x38e38e39
	v_mul_hi_u32 v0, v57, s8
	s_mov_b32 s9, 0xe38e38e
	s_load_dwordx4 s[92:95], s[4:5], 0x10
	v_mov_b32_e32 v18, 0
	v_mad_u64_u32 v[2:3], s[6:7], v56, s8, v[0:1]
	v_mov_b32_e32 v20, 0
	v_mov_b32_e32 v16, 0
	;; [unrolled: 1-line block ×3, first 2 shown]
	v_mad_u64_u32 v[0:1], s[6:7], v57, s9, v[0:1]
	v_ashrrev_i32_e32 v0, 31, v56
	v_mul_lo_u32 v4, v0, s8
	v_add_co_u32_e32 v1, vcc, v3, v1
	v_addc_co_u32_e64 v2, s[6:7], 0, 0, vcc
	v_mad_u64_u32 v[1:2], s[6:7], v56, s9, v[1:2]
	v_mul_lo_u32 v3, v0, s9
	v_mov_b32_e32 v22, 0
	v_mad_u64_u32 v[1:2], s[6:7], v0, s8, v[1:2]
	v_mov_b32_e32 v19, 0
	v_mov_b32_e32 v21, 0
	v_add3_u32 v2, v4, v2, v3
	v_ashrrev_i64 v[3:4], 2, v[1:2]
	v_lshrrev_b32_e32 v1, 31, v2
	v_add_co_u32_e32 v58, vcc, v3, v1
	v_addc_co_u32_e32 v59, vcc, 0, v4, vcc
	s_waitcnt lgkmcnt(0)
	v_cmp_gt_u64_e32 vcc, s[94:95], v[58:59]
	v_mov_b32_e32 v17, 0
	v_mov_b32_e32 v23, 0
	s_and_saveexec_b64 s[94:95], vcc
	s_cbranch_execz .LBB2_128
; %bb.2:
	s_mov_b32 s8, 0xaaaaaaab
	v_mul_hi_u32 v1, v57, s8
	v_mov_b32_e32 v2, 0
	s_mov_b32 s9, 0x2aaaaaaa
	v_mad_u64_u32 v[3:4], s[6:7], v56, s8, v[1:2]
	v_mov_b32_e32 v1, v3
	v_mad_u64_u32 v[5:6], s[6:7], v57, s9, v[1:2]
	v_mul_lo_u32 v5, v0, s9
	v_add_co_u32_e32 v3, vcc, v4, v6
	v_addc_co_u32_e64 v4, s[6:7], 0, 0, vcc
	v_mad_u64_u32 v[3:4], s[6:7], v56, s9, v[3:4]
	v_mul_lo_u32 v6, v0, s8
	v_mad_u64_u32 v[0:1], s[6:7], v0, s8, v[3:4]
	v_add3_u32 v1, v6, v1, v5
	v_lshrrev_b32_e32 v3, 31, v1
	v_add_co_u32_e32 v9, vcc, v0, v3
	v_addc_co_u32_e32 v8, vcc, 0, v1, vcc
	v_mul_hi_u32 v1, v9, s8
	v_mad_u64_u32 v[3:4], s[6:7], v8, s8, v[1:2]
	v_mov_b32_e32 v1, v3
	v_mad_u64_u32 v[0:1], s[6:7], v9, s9, v[1:2]
	v_ashrrev_i32_e32 v2, 31, v8
	v_mul_lo_u32 v3, v2, s9
	v_add_co_u32_e32 v0, vcc, v4, v1
	v_addc_co_u32_e64 v1, s[6:7], 0, 0, vcc
	v_mad_u64_u32 v[0:1], s[6:7], v8, s9, v[0:1]
	v_mul_lo_u32 v4, v2, s8
	v_mad_u64_u32 v[0:1], s[6:7], v2, s8, v[0:1]
	v_add3_u32 v1, v4, v1, v3
	v_ashrrev_i64 v[2:3], 1, v[0:1]
	v_lshrrev_b32_e32 v0, 31, v1
	v_add_co_u32_e32 v0, vcc, v2, v0
	v_mad_u64_u32 v[0:1], s[6:7], v0, 12, 0
	v_addc_co_u32_e32 v2, vcc, 0, v3, vcc
	v_mad_u64_u32 v[1:2], s[6:7], v2, 12, v[1:2]
	v_sub_co_u32_e32 v0, vcc, v9, v0
	v_subb_co_u32_e32 v1, vcc, v8, v1, vcc
	v_cmp_lt_i64_e32 vcc, 5, v[0:1]
	v_lshlrev_b64 v[6:7], 2, v[0:1]
                                        ; implicit-def: $vgpr2_vgpr3
	s_and_saveexec_b64 s[6:7], vcc
	s_xor_b64 s[6:7], exec, s[6:7]
; %bb.3:
	v_sub_co_u32_e32 v0, vcc, 12, v0
	v_subb_co_u32_e32 v1, vcc, 0, v1, vcc
	s_getpc_b64 s[8:9]
	s_add_u32 s8, s8, __const._ZN8rajaperf14hex_intsc_subzEPKdS1_iiRdS2_S2_S2_.cyc_nod@rel32@lo+48
	s_addc_u32 s9, s9, __const._ZN8rajaperf14hex_intsc_subzEPKdS1_iiRdS2_S2_S2_.cyc_nod@rel32@hi+56
	v_mov_b32_e32 v3, s9
	v_sub_co_u32_e32 v2, vcc, s8, v6
	v_subb_co_u32_e32 v3, vcc, v3, v7, vcc
                                        ; implicit-def: $vgpr6_vgpr7
; %bb.4:
	s_or_saveexec_b64 s[6:7], s[6:7]
	s_load_dwordx4 s[8:11], s[4:5], 0x20
	v_mov_b32_e32 v4, 7
	v_mov_b32_e32 v5, 0
	s_xor_b64 exec, exec, s[6:7]
; %bb.5:
	s_getpc_b64 s[4:5]
	s_add_u32 s4, s4, __const._ZN8rajaperf14hex_intsc_subzEPKdS1_iiRdS2_S2_S2_.cyc_nod@rel32@lo+8
	s_addc_u32 s5, s5, __const._ZN8rajaperf14hex_intsc_subzEPKdS1_iiRdS2_S2_S2_.cyc_nod@rel32@hi+16
	v_mov_b32_e32 v3, s5
	v_add_co_u32_e32 v2, vcc, s4, v6
	v_mov_b32_e32 v4, 0
	v_addc_co_u32_e32 v3, vcc, v3, v7, vcc
	v_mov_b32_e32 v5, 0
; %bb.6:
	s_or_b64 exec, exec, s[6:7]
	v_mad_u64_u32 v[5:6], s[4:5], v9, 6, 0
	s_getpc_b64 s[4:5]
	s_add_u32 s4, s4, __const._ZN8rajaperf14hex_intsc_subzEPKdS1_iiRdS2_S2_S2_.vert_cyc@rel32@lo+4
	s_addc_u32 s5, s5, __const._ZN8rajaperf14hex_intsc_subzEPKdS1_iiRdS2_S2_S2_.vert_cyc@rel32@hi+12
	v_mov_b32_e32 v9, s5
	v_mad_u64_u32 v[6:7], s[6:7], v8, 6, v[6:7]
	v_sub_co_u32_e32 v5, vcc, v57, v5
	v_subb_co_u32_e32 v6, vcc, v56, v6, vcc
	v_lshlrev_b64 v[6:7], 2, v[5:6]
	v_add_u16_e32 v5, 1, v5
	v_add_co_u32_e32 v6, vcc, s4, v6
	v_addc_co_u32_e32 v7, vcc, v9, v7, vcc
	global_load_dword v6, v[6:7], off
	v_mov_b32_e32 v7, 43
	v_mul_lo_u16_sdwa v7, sext(v5), v7 dst_sel:DWORD dst_unused:UNUSED_PAD src0_sel:BYTE_0 src1_sel:DWORD
	v_lshrrev_b16_e32 v8, 15, v7
	v_add_u16_sdwa v7, v7, v8 dst_sel:DWORD dst_unused:UNUSED_PAD src0_sel:BYTE_1 src1_sel:DWORD
	v_mul_lo_u16_e32 v7, 6, v7
	v_sub_u16_e32 v5, v5, v7
	v_bfe_i32 v7, v5, 0, 8
	v_ashrrev_i32_e32 v8, 31, v7
	v_lshlrev_b64 v[7:8], 2, v[7:8]
	s_movk_i32 s6, 0xc0
	v_add_co_u32_e32 v7, vcc, s4, v7
	v_addc_co_u32_e32 v8, vcc, v9, v8, vcc
	global_load_dword v5, v[7:8], off
	s_waitcnt lgkmcnt(0)
	v_mov_b32_e32 v7, s10
	v_mov_b32_e32 v8, s11
	v_mul_lo_u32 v28, v59, s6
	v_mad_u64_u32 v[8:9], s[4:5], v58, s6, v[7:8]
	v_lshlrev_b64 v[0:1], 2, v[0:1]
	s_getpc_b64 s[4:5]
	s_add_u32 s4, s4, __const._ZN8rajaperf14hex_intsc_subzEPKdS1_iiRdS2_S2_S2_.cyc_nod@rel32@lo+4
	s_addc_u32 s5, s5, __const._ZN8rajaperf14hex_intsc_subzEPKdS1_iiRdS2_S2_S2_.cyc_nod@rel32@hi+12
	v_add_u32_e32 v9, v28, v9
	global_load_dwordx4 v[48:51], v[8:9], off offset:120
	global_load_dwordx4 v[52:55], v[8:9], off offset:56
	v_lshlrev_b32_e32 v4, 3, v4
	v_mov_b32_e32 v44, 6
	v_mov_b32_e32 v45, 7
	;; [unrolled: 1-line block ×4, first 2 shown]
	s_mov_b64 s[12:13], 0
	v_mov_b32_e32 v108, -1
	v_mov_b32_e32 v31, 0
	v_mov_b32_e32 v30, 0
	v_mov_b32_e32 v135, -1
	v_mov_b32_e32 v137, -1
	;; [unrolled: 1-line block ×3, first 2 shown]
                                        ; implicit-def: $sgpr38_sgpr39
	global_load_dwordx2 v[60:61], v[8:9], off
	s_waitcnt vmcnt(4)
	v_ashrrev_i32_e32 v7, 31, v6
	v_lshlrev_b64 v[6:7], 3, v[6:7]
	v_add_co_u32_e32 v10, vcc, v8, v6
	v_addc_co_u32_e32 v11, vcc, v9, v7, vcc
	global_load_dwordx2 v[12:13], v[10:11], off
	s_waitcnt vmcnt(4)
	v_ashrrev_i32_e32 v6, 31, v5
	v_lshlrev_b64 v[5:6], 3, v[5:6]
	v_add_co_u32_e32 v5, vcc, v8, v5
	v_addc_co_u32_e32 v6, vcc, v9, v6, vcc
	global_load_dwordx2 v[14:15], v[5:6], off offset:64
	global_load_dwordx2 v[16:17], v[5:6], off offset:128
	global_load_dwordx2 v[18:19], v[8:9], off offset:184
	global_load_dwordx2 v[20:21], v[5:6], off
	global_load_dwordx2 v[22:23], v[10:11], off offset:128
	global_load_dwordx2 v[24:25], v[10:11], off offset:64
	global_load_dword v7, v[2:3], off
	v_mov_b32_e32 v2, s5
	v_add_co_u32_e32 v0, vcc, s4, v0
	v_addc_co_u32_e32 v1, vcc, v2, v1, vcc
	global_load_dword v5, v[0:1], off
	s_waitcnt vmcnt(10)
	v_add_f64 v[62:63], v[48:49], -v[54:55]
	s_waitcnt vmcnt(9)
	v_add_f64 v[52:53], v[52:53], -v[60:61]
	;; [unrolled: 2-line block ×3, first 2 shown]
	v_mov_b32_e32 v12, s8
	v_mov_b32_e32 v13, s9
	v_mul_f64 v[26:27], v[74:75], v[62:63]
	s_waitcnt vmcnt(7)
	v_add_f64 v[66:67], v[14:15], -v[54:55]
	s_waitcnt vmcnt(6)
	v_add_f64 v[68:69], v[16:17], -v[50:51]
	;; [unrolled: 2-line block ×6, first 2 shown]
	v_mov_b32_e32 v23, 5
	v_mul_f64 v[0:1], v[74:75], v[66:67]
	v_mul_f64 v[2:3], v[68:69], v[26:27]
	;; [unrolled: 1-line block ×5, first 2 shown]
	v_fma_f64 v[26:27], v[76:77], v[52:53], -v[26:27]
	v_fma_f64 v[10:11], v[0:1], v[64:65], -v[2:3]
	v_mul_f64 v[2:3], v[76:77], v[70:71]
	v_fma_f64 v[8:9], v[72:73], v[8:9], v[10:11]
	v_mad_u64_u32 v[10:11], s[4:5], v58, s6, v[12:13]
	s_mov_b32 s4, 0xe48e0530
	s_mov_b32 s5, 0x2b2bff2e
	v_add_u32_e32 v21, v28, v11
	v_mul_f64 v[11:12], v[76:77], v[52:53]
	v_add_co_u32_e32 v15, vcc, v10, v4
	v_fma_f64 v[13:14], -v[2:3], v[64:65], v[8:9]
	s_waitcnt vmcnt(1)
	v_ashrrev_i32_e32 v8, 31, v7
	v_lshlrev_b64 v[6:7], 3, v[7:8]
	v_addc_co_u32_e32 v16, vcc, 0, v21, vcc
	v_add_co_u32_e32 v8, vcc, v10, v6
	s_waitcnt vmcnt(0)
	v_ashrrev_i32_e32 v6, 31, v5
	v_fma_f64 v[11:12], v[68:69], v[11:12], v[13:14]
	v_lshlrev_b64 v[4:5], 3, v[5:6]
	v_addc_co_u32_e32 v9, vcc, v21, v7, vcc
	global_load_dwordx2 v[17:18], v[15:16], off offset:64
	global_load_dwordx2 v[19:20], v[15:16], off offset:128
	v_add_co_u32_e32 v4, vcc, v10, v4
	v_addc_co_u32_e32 v5, vcc, v21, v5, vcc
	v_fma_f64 v[78:79], -v[72:73], v[24:25], v[11:12]
	global_load_dwordx2 v[6:7], v[8:9], off offset:64
	global_load_dwordx2 v[12:13], v[8:9], off offset:128
	;; [unrolled: 1-line block ×3, first 2 shown]
	global_load_dwordx2 v[32:33], v[4:5], off
	global_load_dwordx2 v[34:35], v[15:16], off
	;; [unrolled: 1-line block ×3, first 2 shown]
	global_load_dwordx2 v[38:39], v[4:5], off offset:128
	v_mov_b32_e32 v14, 1
	v_mov_b32_e32 v15, 2
	;; [unrolled: 1-line block ×3, first 2 shown]
	v_fma_f64 v[28:29], v[78:79], v[78:79], s[4:5]
	buffer_store_dword v14, off, s[0:3], 0 offset:40
	buffer_store_dword v15, off, s[0:3], 0 offset:44
	;; [unrolled: 1-line block ×6, first 2 shown]
	v_mul_f64 v[44:45], v[70:71], v[64:65]
	v_fma_f64 v[24:25], v[70:71], v[62:63], -v[24:25]
	buffer_store_dword v80, off, s[0:3], 0 offset:68
	buffer_store_dword v81, off, s[0:3], 0 offset:84
	;; [unrolled: 1-line block ×4, first 2 shown]
	v_div_scale_f64 v[8:9], s[4:5], v[28:29], v[28:29], v[78:79]
	v_div_scale_f64 v[40:41], vcc, v[78:79], v[28:29], v[78:79]
	v_fma_f64 v[44:45], v[68:69], v[52:53], -v[44:45]
	v_rcp_f64_e32 v[4:5], v[8:9]
	v_fma_f64 v[10:11], -v[8:9], v[4:5], 1.0
	v_fma_f64 v[4:5], v[4:5], v[10:11], v[4:5]
	v_fma_f64 v[10:11], -v[8:9], v[4:5], 1.0
	v_fma_f64 v[42:43], v[4:5], v[10:11], v[4:5]
	s_waitcnt vmcnt(18)
	v_add_f64 v[10:11], v[17:18], -v[54:55]
	s_waitcnt vmcnt(17)
	v_add_f64 v[4:5], v[19:20], -v[50:51]
	v_mul_f64 v[18:19], v[72:73], v[52:53]
	v_mul_f64 v[46:47], v[40:41], v[42:43]
	s_waitcnt vmcnt(16)
	v_add_f64 v[14:15], v[6:7], -v[54:55]
	s_waitcnt vmcnt(14)
	v_add_f64 v[20:21], v[21:22], -v[54:55]
	v_add_f64 v[6:7], v[12:13], -v[50:51]
	s_waitcnt vmcnt(12)
	v_add_f64 v[16:17], v[34:35], -v[60:61]
	s_waitcnt vmcnt(11)
	v_add_f64 v[12:13], v[36:37], -v[60:61]
	v_mul_f64 v[34:35], v[76:77], v[64:65]
	v_fma_f64 v[36:37], v[74:75], v[64:65], -v[18:19]
	v_fma_f64 v[8:9], -v[8:9], v[46:47], v[40:41]
	v_fma_f64 v[40:41], v[66:67], v[64:65], -v[48:49]
	v_mul_f64 v[18:19], v[10:11], v[44:45]
	v_add_f64 v[22:23], v[32:33], -v[60:61]
	v_mul_f64 v[32:33], v[20:21], v[44:45]
	v_fma_f64 v[34:35], v[72:73], v[62:63], -v[34:35]
	v_div_fmas_f64 v[8:9], v[8:9], v[42:43], v[46:47]
	v_mul_f64 v[42:43], v[14:15], v[44:45]
	v_mul_f64 v[44:45], v[10:11], v[36:37]
	v_fma_f64 v[46:47], v[16:17], v[40:41], v[18:19]
	s_waitcnt vmcnt(10)
	v_add_f64 v[18:19], v[38:39], -v[50:51]
	v_mul_f64 v[38:39], v[20:21], v[36:37]
	v_fma_f64 v[32:33], v[22:23], v[40:41], v[32:33]
	v_mul_f64 v[36:37], v[14:15], v[36:37]
	v_fma_f64 v[40:41], v[12:13], v[40:41], v[42:43]
	v_fma_f64 v[42:43], v[16:17], v[34:35], v[44:45]
	;; [unrolled: 1-line block ×3, first 2 shown]
	v_div_fixup_f64 v[8:9], v[8:9], v[28:29], v[78:79]
	v_fma_f64 v[28:29], v[22:23], v[34:35], v[38:39]
	v_fma_f64 v[38:39], v[18:19], v[24:25], v[32:33]
	v_fma_f64 v[32:33], v[12:13], v[34:35], v[36:37]
	v_fma_f64 v[36:37], v[6:7], v[24:25], v[40:41]
	v_fma_f64 v[40:41], v[4:5], v[26:27], v[42:43]
	v_fma_f64 v[24:25], -v[44:45], v[8:9], 1.0
	v_fma_f64 v[28:29], v[18:19], v[26:27], v[28:29]
	v_fma_f64 v[42:43], -v[38:39], v[8:9], 1.0
	v_fma_f64 v[46:47], v[6:7], v[26:27], v[32:33]
	v_fma_f64 v[26:27], -v[36:37], v[8:9], 1.0
	v_mul_f64 v[32:33], v[44:45], v[8:9]
	v_mul_f64 v[34:35], v[38:39], v[8:9]
	;; [unrolled: 1-line block ×3, first 2 shown]
	v_fma_f64 v[106:107], -v[40:41], v[8:9], v[24:25]
	v_mul_f64 v[84:85], v[40:41], v[8:9]
	v_fma_f64 v[24:25], -v[28:29], v[8:9], v[42:43]
	v_mul_f64 v[80:81], v[28:29], v[8:9]
	;; [unrolled: 2-line block ×3, first 2 shown]
	buffer_store_dword v107, off, s[0:3], 0 offset:4
	buffer_store_dword v106, off, s[0:3], 0
	buffer_store_dword v25, off, s[0:3], 0 offset:12
	buffer_store_dword v24, off, s[0:3], 0 offset:8
	;; [unrolled: 1-line block ×4, first 2 shown]
	v_mov_b32_e32 v28, v106
	v_mov_b32_e32 v29, v107
.LBB2_7:                                ; =>This Inner Loop Header: Depth=1
	v_lshl_add_u32 v38, v31, 2, v30
	buffer_load_dword v40, v38, s[0:3], 0 offen offset:40
	v_cmp_le_f64_e32 vcc, 0, v[28:29]
	v_cmp_gt_f64_e64 s[4:5], 0, v[28:29]
	v_mov_b32_e32 v109, v136
	s_waitcnt vmcnt(0)
	v_max_i32_e32 v41, 0, v40
	v_lshl_add_u32 v42, v41, 3, v30
	buffer_load_dword v38, v42, s[0:3], 0 offen
	buffer_load_dword v39, v42, s[0:3], 0 offen offset:4
	v_cmp_gt_i32_e64 s[6:7], 0, v40
	s_waitcnt vmcnt(0)
	v_cmp_gt_f64_e64 s[8:9], 0, v[38:39]
	v_cmp_le_f64_e64 s[10:11], 0, v[38:39]
	v_mov_b32_e32 v28, v38
	v_mov_b32_e32 v29, v39
	s_and_b64 vcc, vcc, s[8:9]
	s_and_b64 s[8:9], s[4:5], s[10:11]
	s_or_b64 s[12:13], s[6:7], s[12:13]
	s_andn2_b64 s[6:7], s[38:39], exec
	s_and_b64 s[4:5], s[4:5], exec
	v_cndmask_b32_e32 v137, v137, v41, vcc
	v_cndmask_b32_e64 v136, v109, v41, s[8:9]
	v_cndmask_b32_e32 v108, v108, v31, vcc
	v_cndmask_b32_e64 v135, v135, v31, s[8:9]
	v_mov_b32_e32 v31, v40
	s_or_b64 s[38:39], s[6:7], s[4:5]
	s_andn2_b64 exec, exec, s[12:13]
	s_cbranch_execnz .LBB2_7
; %bb.8:
	s_or_b64 exec, exec, s[12:13]
	v_mul_f64 v[28:29], v[74:75], v[68:69]
	v_mul_f64 v[30:31], v[72:73], v[66:67]
	v_add_f64 v[0:1], v[0:1], -v[2:3]
	v_mov_b32_e32 v38, 0
	v_mov_b32_e32 v39, v38
	;; [unrolled: 1-line block ×5, first 2 shown]
	v_fma_f64 v[2:3], v[72:73], v[70:71], -v[28:29]
	v_fma_f64 v[28:29], v[76:77], v[68:69], -v[30:31]
	v_mov_b32_e32 v43, v38
	v_mov_b32_e32 v44, v38
	;; [unrolled: 1-line block ×6, first 2 shown]
	v_mul_f64 v[10:11], v[10:11], v[2:3]
	v_mul_f64 v[20:21], v[20:21], v[2:3]
	;; [unrolled: 1-line block ×3, first 2 shown]
	v_mov_b32_e32 v49, v38
	v_mov_b32_e32 v92, v38
	;; [unrolled: 1-line block ×5, first 2 shown]
	v_fma_f64 v[10:11], v[16:17], v[28:29], v[10:11]
	v_fma_f64 v[14:15], v[22:23], v[28:29], v[20:21]
	;; [unrolled: 1-line block ×3, first 2 shown]
	v_mov_b32_e32 v117, v38
	v_mov_b32_e32 v110, v38
	;; [unrolled: 1-line block ×5, first 2 shown]
	v_fma_f64 v[4:5], v[4:5], v[0:1], v[10:11]
	v_fma_f64 v[10:11], v[18:19], v[0:1], v[14:15]
	;; [unrolled: 1-line block ×3, first 2 shown]
	v_mov_b32_e32 v112, v38
	v_mov_b32_e32 v115, v38
	;; [unrolled: 1-line block ×5, first 2 shown]
	v_mul_f64 v[90:91], v[4:5], v[8:9]
	v_mul_f64 v[88:89], v[10:11], v[8:9]
	;; [unrolled: 1-line block ×3, first 2 shown]
	v_fma_f64 v[100:101], -v[4:5], v[8:9], v[106:107]
	v_fma_f64 v[98:99], -v[10:11], v[8:9], v[24:25]
	;; [unrolled: 1-line block ×3, first 2 shown]
	v_mov_b32_e32 v0, v32
	v_mov_b32_e32 v22, v54
	;; [unrolled: 1-line block ×13, first 2 shown]
	v_mov_b32_e32 v134, -1
	v_cmp_lt_i32_e64 s[4:5], -1, v108
	v_mov_b32_e32 v1, v33
	v_mov_b32_e32 v2, v34
	;; [unrolled: 1-line block ×21, first 2 shown]
	v_mov_b32_e32 v22, -1
	v_mov_b32_e32 v23, -1
	v_mov_b32_e32 v24, v56
	v_mov_b32_e32 v25, v57
	;; [unrolled: 1-line block ×8, first 2 shown]
	s_and_saveexec_b64 s[40:41], s[4:5]
                                        ; implicit-def: $vgpr118
                                        ; implicit-def: $vgpr121
                                        ; implicit-def: $vgpr119
                                        ; implicit-def: $vgpr122
                                        ; implicit-def: $vgpr123
                                        ; implicit-def: $vgpr124
                                        ; implicit-def: $vgpr120
                                        ; implicit-def: $vgpr125
                                        ; implicit-def: $vgpr18_vgpr19
                                        ; implicit-def: $vgpr20_vgpr21
	s_cbranch_execz .LBB2_10
; %bb.9:
	s_mov_b32 s8, 0
	v_lshl_add_u32 v4, v137, 3, s8
	v_lshl_add_u32 v5, v108, 3, s8
	buffer_load_dword v0, v4, s[0:3], 0 offen
	buffer_load_dword v1, v4, s[0:3], 0 offen offset:4
	buffer_load_dword v2, v5, s[0:3], 0 offen
	buffer_load_dword v3, v5, s[0:3], 0 offen offset:4
	v_lshl_add_u32 v12, v135, 3, s8
	v_lshl_add_u32 v13, v136, 3, s8
	buffer_load_dword v4, v12, s[0:3], 0 offen
	buffer_load_dword v5, v12, s[0:3], 0 offen offset:4
	buffer_load_dword v6, v13, s[0:3], 0 offen
	buffer_load_dword v7, v13, s[0:3], 0 offen offset:4
	v_cmp_eq_u32_e32 vcc, 1, v108
	v_cndmask_b32_e32 v8, v33, v35, vcc
	v_cmp_eq_u32_e64 s[10:11], 1, v137
	v_cmp_eq_u32_e64 s[6:7], 1, v136
	;; [unrolled: 1-line block ×4, first 2 shown]
	v_mov_b32_e32 v9, 5
	v_cndmask_b32_e64 v10, v33, v35, s[10:11]
	v_cndmask_b32_e64 v11, v33, v35, s[6:7]
	;; [unrolled: 1-line block ×4, first 2 shown]
	v_cndmask_b32_e32 v13, v32, v34, vcc
	v_cmp_eq_u32_e64 s[16:17], 2, v137
	v_cndmask_b32_e64 v14, v32, v34, s[10:11]
	v_cndmask_b32_e32 v15, v85, v81, vcc
	v_cndmask_b32_e32 v16, v84, v80, vcc
	v_cndmask_b32_e64 v17, v85, v81, s[10:11]
	v_cndmask_b32_e64 v18, v84, v80, s[10:11]
	v_cndmask_b32_e32 v19, v91, v89, vcc
	v_cndmask_b32_e32 v20, v90, v88, vcc
	v_cndmask_b32_e64 v21, v91, v89, s[10:11]
	;; [unrolled: 4-line block ×3, first 2 shown]
	v_cndmask_b32_e64 v28, v100, v98, s[10:11]
	v_cmp_eq_u32_e64 s[10:11], 2, v136
	v_cmp_eq_u32_e64 s[12:13], 2, v135
	v_cmp_eq_u32_e32 vcc, 3, v108
	buffer_store_dword v9, off, s[0:3], 0 offset:84
	v_cndmask_b32_e64 v29, v11, v37, s[10:11]
	v_cndmask_b32_e64 v31, v12, v37, s[12:13]
	v_cndmask_b32_e64 v8, v8, 0, vcc
	v_cndmask_b32_e64 v9, v13, v36, s[14:15]
	v_cndmask_b32_e64 v11, v14, v36, s[16:17]
	;; [unrolled: 1-line block ×11, first 2 shown]
	v_cmp_eq_u32_e64 s[14:15], 4, v108
	v_cndmask_b32_e64 v19, v24, v86, s[16:17]
	v_cndmask_b32_e64 v24, v27, v97, s[16:17]
	;; [unrolled: 1-line block ×3, first 2 shown]
	v_cndmask_b32_e64 v27, v9, 0, vcc
	v_cndmask_b32_e64 v12, v12, 0, vcc
	;; [unrolled: 1-line block ×3, first 2 shown]
	v_cndmask_b32_e64 v40, v12, 0, s[14:15]
	v_cndmask_b32_e64 v41, v13, 0, s[14:15]
	v_cndmask_b32_e64 v10, v10, v37, s[16:17]
	v_cmp_eq_u32_e64 s[18:19], 3, v137
	v_cndmask_b32_e64 v10, v10, 0, s[18:19]
	v_cndmask_b32_e64 v25, v28, v96, s[16:17]
	v_cmp_eq_u32_e64 s[16:17], 4, v137
	v_cndmask_b32_e64 v10, v10, 0, s[16:17]
	v_cndmask_b32_e64 v11, v11, 0, s[18:19]
	;; [unrolled: 1-line block ×7, first 2 shown]
	v_cndmask_b32_e64 v20, v20, 0, vcc
	v_cndmask_b32_e64 v21, v21, 0, vcc
	v_cndmask_b32_e64 v27, v27, 0, s[14:15]
	v_cndmask_b32_e64 v42, v14, 0, s[16:17]
	;; [unrolled: 1-line block ×7, first 2 shown]
	s_waitcnt vmcnt(7)
	v_add_f64 v[8:9], -v[0:1], 0
	v_cmp_eq_u32_e64 s[22:23], 8, v137
	s_waitcnt vmcnt(5)
	v_add_f64 v[0:1], v[2:3], -v[0:1]
	v_cmp_eq_u32_e64 s[24:25], 3, v135
	v_cmp_eq_u32_e64 s[26:27], 4, v135
	;; [unrolled: 1-line block ×6, first 2 shown]
	v_cndmask_b32_e64 v30, v32, v34, s[6:7]
	v_div_scale_f64 v[2:3], s[20:21], v[0:1], v[0:1], v[8:9]
	v_cndmask_b32_e64 v18, v18, v0, s[18:19]
	v_cndmask_b32_e64 v19, v19, v0, s[18:19]
	v_cmp_eq_u32_e64 s[18:19], 5, v137
	v_cndmask_b32_e64 v28, v10, 0, s[18:19]
	s_waitcnt vmcnt(3)
	v_add_f64 v[10:11], -v[4:5], 0
	s_waitcnt vmcnt(1)
	v_add_f64 v[4:5], v[6:7], -v[4:5]
	v_cndmask_b32_e32 v16, v16, v0, vcc
	v_cndmask_b32_e32 v17, v17, v0, vcc
	v_cndmask_b32_e64 v16, v16, v0, s[14:15]
	v_cndmask_b32_e64 v17, v17, v0, s[14:15]
	v_cmp_eq_u32_e32 vcc, 5, v108
	v_cndmask_b32_e64 v18, v18, v0, s[16:17]
	v_cndmask_b32_e64 v19, v19, v0, s[16:17]
	v_div_scale_f64 v[6:7], s[14:15], v[4:5], v[4:5], v[10:11]
	v_rcp_f64_e32 v[12:13], v[2:3]
	v_cndmask_b32_e64 v26, v26, 0, vcc
	v_cndmask_b32_e64 v27, v27, 0, vcc
	;; [unrolled: 1-line block ×4, first 2 shown]
	v_cndmask_b32_e32 v44, v16, v0, vcc
	v_cndmask_b32_e32 v45, v17, v0, vcc
	v_cndmask_b32_e64 v46, v18, v0, s[18:19]
	v_cndmask_b32_e64 v47, v19, v0, s[18:19]
	v_cndmask_b32_e64 v48, v20, 0, vcc
	v_cndmask_b32_e64 v49, v21, 0, vcc
	v_div_scale_f64 v[16:17], vcc, v[8:9], v[0:1], v[8:9]
	v_cmp_eq_u32_e64 s[14:15], 6, v108
	v_cndmask_b32_e64 v26, v26, 0, s[14:15]
	v_cndmask_b32_e64 v27, v27, 0, s[14:15]
	v_fma_f64 v[14:15], -v[2:3], v[12:13], 1.0
	v_cndmask_b32_e64 v40, v40, 0, s[14:15]
	v_cndmask_b32_e64 v41, v41, 0, s[14:15]
	;; [unrolled: 1-line block ×6, first 2 shown]
	v_cmp_eq_u32_e64 s[16:17], 6, v137
	v_fma_f64 v[12:13], v[12:13], v[14:15], v[12:13]
	v_rcp_f64_e32 v[14:15], v[6:7]
	v_cndmask_b32_e64 v39, v39, 0, s[18:19]
	v_cndmask_b32_e64 v42, v42, 0, s[18:19]
	;; [unrolled: 1-line block ×5, first 2 shown]
	v_cmp_eq_u32_e64 s[18:19], 7, v108
	v_fma_f64 v[18:19], -v[2:3], v[12:13], 1.0
	v_cndmask_b32_e64 v28, v28, 0, s[16:17]
	v_cndmask_b32_e64 v26, v26, 0, s[18:19]
	v_cmp_eq_u32_e64 s[20:21], 7, v137
	v_cndmask_b32_e64 v39, v39, 0, s[16:17]
	v_cndmask_b32_e64 v42, v42, 0, s[16:17]
	;; [unrolled: 1-line block ×4, first 2 shown]
	v_fma_f64 v[12:13], v[12:13], v[18:19], v[12:13]
	v_fma_f64 v[18:19], -v[6:7], v[14:15], 1.0
	v_cndmask_b32_e64 v47, v47, v0, s[16:17]
	v_cndmask_b32_e64 v24, v24, 0, s[16:17]
	;; [unrolled: 1-line block ×3, first 2 shown]
	v_cmp_eq_u32_e64 s[16:17], 8, v108
	v_cndmask_b32_e64 v25, v26, 0, s[16:17]
	v_cndmask_b32_e64 v26, v41, 0, s[18:19]
	v_mul_f64 v[20:21], v[16:17], v[12:13]
	v_fma_f64 v[14:15], v[14:15], v[18:19], v[14:15]
	v_div_scale_f64 v[18:19], s[14:15], v[10:11], v[4:5], v[10:11]
	v_cndmask_b32_e64 v41, v46, v0, s[20:21]
	v_cndmask_b32_e64 v28, v28, 0, s[20:21]
	;; [unrolled: 1-line block ×3, first 2 shown]
	v_mov_b32_e32 v22, 3
	v_fma_f64 v[2:3], -v[2:3], v[20:21], v[16:17]
	v_fma_f64 v[16:17], -v[6:7], v[14:15], 1.0
	v_mov_b32_e32 v23, 4
	v_mov_b32_e32 v117, v38
	;; [unrolled: 1-line block ×6, first 2 shown]
	v_div_fmas_f64 v[2:3], v[2:3], v[12:13], v[20:21]
	v_fma_f64 v[12:13], v[14:15], v[16:17], v[14:15]
	v_cndmask_b32_e64 v20, v27, 0, s[18:19]
	v_cndmask_b32_e64 v14, v39, 0, s[20:21]
	v_cndmask_b32_e64 v21, v40, 0, s[18:19]
	v_cndmask_b32_e64 v27, v42, 0, s[20:21]
	v_cndmask_b32_e64 v39, v44, v0, s[18:19]
	v_cndmask_b32_e64 v40, v45, v0, s[18:19]
	v_cndmask_b32_e64 v42, v47, v0, s[20:21]
	v_mul_f64 v[16:17], v[18:19], v[12:13]
	v_cndmask_b32_e64 v15, v28, 0, s[22:23]
	v_cndmask_b32_e64 v14, v14, 0, s[22:23]
	s_mov_b64 vcc, s[14:15]
	v_cndmask_b32_e64 v45, v24, 0, s[20:21]
	v_cndmask_b32_e64 v24, v20, 0, s[16:17]
	;; [unrolled: 1-line block ×3, first 2 shown]
	v_div_fixup_f64 v[0:1], v[2:3], v[0:1], v[8:9]
	v_fma_f64 v[2:3], -v[6:7], v[16:17], v[18:19]
	v_cndmask_b32_e64 v8, v26, 0, s[16:17]
	v_cndmask_b32_e64 v9, v21, 0, s[16:17]
	;; [unrolled: 1-line block ×5, first 2 shown]
	v_cmp_eq_u32_e64 s[14:15], 4, v136
	v_add_f64 v[6:7], -v[0:1], 1.0
	v_div_fmas_f64 v[2:3], v[2:3], v[12:13], v[16:17]
	v_cndmask_b32_e64 v13, v27, 0, s[22:23]
	v_cndmask_b32_e64 v12, v28, 0, s[22:23]
	;; [unrolled: 1-line block ×5, first 2 shown]
	v_cmp_eq_u32_e32 vcc, 3, v136
	v_mul_f64 v[19:20], v[14:15], v[6:7]
	v_mul_f64 v[12:13], v[12:13], v[6:7]
	v_cndmask_b32_e64 v15, v45, 0, s[22:23]
	v_cndmask_b32_e64 v14, v46, 0, s[22:23]
	v_mul_f64 v[17:18], v[17:18], v[6:7]
	v_mul_f64 v[26:27], v[14:15], v[6:7]
	v_cndmask_b32_e64 v15, v40, v0, s[16:17]
	v_cndmask_b32_e64 v28, v85, v81, s[8:9]
	v_fma_f64 v[6:7], v[24:25], v[0:1], v[19:20]
	v_fma_f64 v[92:93], v[8:9], v[0:1], v[12:13]
	v_cndmask_b32_e64 v20, v44, 0, s[16:17]
	v_div_fixup_f64 v[24:25], v[2:3], v[4:5], v[10:11]
	v_fma_f64 v[18:19], v[15:16], v[0:1], v[17:18]
	v_fma_f64 v[102:103], v[20:21], v[0:1], v[26:27]
	v_cmp_eq_u32_e64 s[16:17], 5, v136
	v_cmp_eq_u32_e64 s[18:19], 6, v136
	v_cndmask_b32_e32 v0, v29, v7, vcc
	v_cndmask_b32_e64 v0, v0, 0, s[14:15]
	v_cndmask_b32_e64 v0, v0, 0, s[16:17]
	v_cndmask_b32_e64 v28, v28, v83, s[12:13]
	v_cndmask_b32_e64 v0, v0, 0, s[18:19]
	v_cmp_eq_u32_e64 s[20:21], 7, v136
	v_cndmask_b32_e64 v28, v28, v93, s[24:25]
	v_cndmask_b32_e64 v0, v0, 0, s[20:21]
	v_cmp_eq_u32_e64 s[22:23], 8, v136
	v_cndmask_b32_e64 v28, v28, 0, s[26:27]
	v_cndmask_b32_e64 v1, v0, 0, s[22:23]
	;; [unrolled: 1-line block ×9, first 2 shown]
	v_add_f64 v[26:27], -v[24:25], 1.0
	v_cndmask_b32_e64 v29, v28, 0, s[36:37]
	v_cndmask_b32_e64 v28, v84, v80, s[8:9]
	;; [unrolled: 1-line block ×10, first 2 shown]
	v_cndmask_b32_e32 v20, v20, v93, vcc
	v_cndmask_b32_e64 v28, v28, 0, s[26:27]
	v_cndmask_b32_e64 v0, v0, v6, s[24:25]
	;; [unrolled: 1-line block ×16, first 2 shown]
	v_mul_f64 v[28:29], v[28:29], v[26:27]
	v_cndmask_b32_e64 v2, v0, 0, s[36:37]
	v_cndmask_b32_e64 v20, v20, v82, s[10:11]
	v_mul_f64 v[2:3], v[2:3], v[26:27]
	v_cndmask_b32_e32 v20, v20, v92, vcc
	v_cndmask_b32_e64 v0, v30, v36, s[10:11]
	v_cndmask_b32_e64 v20, v20, 0, s[14:15]
	v_cndmask_b32_e32 v0, v0, v6, vcc
	v_cndmask_b32_e64 v20, v20, 0, s[16:17]
	v_cndmask_b32_e64 v0, v0, 0, s[14:15]
	;; [unrolled: 1-line block ×8, first 2 shown]
	v_fma_f64 v[94:95], v[20:21], v[24:25], v[28:29]
	v_cndmask_b32_e64 v28, v91, v89, s[8:9]
	v_cndmask_b32_e64 v0, v0, 0, s[22:23]
	;; [unrolled: 1-line block ×3, first 2 shown]
	v_fma_f64 v[8:9], v[0:1], v[24:25], v[2:3]
	v_mov_b32_e32 v0, v32
	v_cndmask_b32_e64 v28, v28, v19, s[24:25]
	v_cndmask_b32_e64 v28, v28, v0, s[26:27]
	;; [unrolled: 1-line block ×11, first 2 shown]
	v_cndmask_b32_e32 v20, v20, v19, vcc
	v_cndmask_b32_e64 v28, v28, v0, s[26:27]
	v_cndmask_b32_e64 v20, v20, v0, s[14:15]
	;; [unrolled: 1-line block ×11, first 2 shown]
	v_mul_f64 v[28:29], v[28:29], v[26:27]
	v_cndmask_b32_e64 v20, v20, v86, s[10:11]
	v_cndmask_b32_e32 v20, v20, v18, vcc
	v_cndmask_b32_e64 v20, v20, v0, s[14:15]
	v_cndmask_b32_e64 v20, v20, v0, s[16:17]
	v_cndmask_b32_e64 v20, v20, v0, s[18:19]
	v_cndmask_b32_e64 v20, v20, v0, s[20:21]
	v_cndmask_b32_e64 v20, v20, v0, s[22:23]
	v_fma_f64 v[20:21], v[20:21], v[24:25], v[28:29]
	v_cndmask_b32_e64 v29, v101, v99, s[8:9]
	v_cndmask_b32_e64 v29, v29, v97, s[12:13]
	;; [unrolled: 1-line block ×18, first 2 shown]
	v_mul_f64 v[29:30], v[29:30], v[26:27]
	v_cndmask_b32_e64 v28, v28, v97, s[10:11]
	v_cndmask_b32_e64 v26, v31, v96, s[10:11]
	v_cndmask_b32_e32 v28, v28, v103, vcc
	v_cndmask_b32_e32 v26, v26, v102, vcc
	v_cndmask_b32_e64 v28, v28, 0, s[14:15]
	v_cndmask_b32_e64 v26, v26, 0, s[14:15]
	;; [unrolled: 1-line block ×10, first 2 shown]
	v_fma_f64 v[104:105], v[27:28], v[24:25], v[29:30]
	v_mov_b32_e32 v1, v33
	v_mov_b32_e32 v2, v34
	;; [unrolled: 1-line block ×24, first 2 shown]
                                        ; implicit-def: $vgpr118
                                        ; implicit-def: $vgpr121
                                        ; implicit-def: $vgpr119
                                        ; implicit-def: $vgpr122
                                        ; implicit-def: $vgpr123
                                        ; implicit-def: $vgpr124
                                        ; implicit-def: $vgpr120
                                        ; implicit-def: $vgpr125
.LBB2_10:
	s_or_b64 exec, exec, s[40:41]
	s_mov_b64 s[6:7], 0
	buffer_store_dword v134, off, s[0:3], 0 offset:80
	s_branch .LBB2_12
.LBB2_11:                               ;   in Loop: Header=BB2_12 Depth=1
	s_or_b64 exec, exec, s[10:11]
	s_waitcnt vmcnt(0)
	v_cmp_gt_i32_e32 vcc, 0, v24
	s_or_b64 s[6:7], vcc, s[6:7]
	v_mov_b32_e32 v38, v24
	s_andn2_b64 exec, exec, s[6:7]
	s_cbranch_execz .LBB2_18
.LBB2_12:                               ; =>This Inner Loop Header: Depth=1
	v_lshlrev_b32_e32 v24, 2, v38
	v_mov_b32_e32 v25, v24
	v_add_u32_e32 v28, v25, v24
	buffer_load_dword v26, v28, s[0:3], 0 offen
	buffer_load_dword v27, v28, s[0:3], 0 offen offset:4
	buffer_load_dword v24, v25, s[0:3], 0 offen offset:40
	s_mov_b64 s[8:9], 0
	s_waitcnt vmcnt(1)
	v_cmp_ngt_f64_e32 vcc, 0, v[26:27]
	s_and_saveexec_b64 s[10:11], vcc
	s_xor_b64 s[10:11], exec, s[10:11]
	s_cbranch_execnz .LBB2_15
; %bb.13:                               ;   in Loop: Header=BB2_12 Depth=1
	s_or_saveexec_b64 s[10:11], s[10:11]
	v_mov_b32_e32 v26, 0x50
	s_xor_b64 exec, exec, s[10:11]
	s_cbranch_execnz .LBB2_16
.LBB2_14:                               ;   in Loop: Header=BB2_12 Depth=1
	s_or_b64 exec, exec, s[10:11]
	s_and_saveexec_b64 s[10:11], s[8:9]
	s_cbranch_execz .LBB2_11
	s_branch .LBB2_17
.LBB2_15:                               ;   in Loop: Header=BB2_12 Depth=1
	buffer_load_dword v25, off, s[0:3], 0 offset:80
	s_waitcnt vmcnt(0)
	v_cmp_eq_u32_e32 vcc, -1, v25
	s_and_b64 s[8:9], vcc, exec
                                        ; implicit-def: $vgpr25
	s_or_saveexec_b64 s[10:11], s[10:11]
	v_mov_b32_e32 v26, 0x50
	s_xor_b64 exec, exec, s[10:11]
	s_cbranch_execz .LBB2_14
.LBB2_16:                               ;   in Loop: Header=BB2_12 Depth=1
	buffer_load_dword v27, off, s[0:3], 0 offset:84
	v_mov_b32_e32 v26, 0x54
	s_or_b64 s[8:9], s[8:9], exec
	s_waitcnt vmcnt(0)
	buffer_store_dword v27, v25, s[0:3], 0 offen offset:40
	s_or_b64 exec, exec, s[10:11]
	s_and_saveexec_b64 s[10:11], s[8:9]
	s_cbranch_execz .LBB2_11
.LBB2_17:                               ;   in Loop: Header=BB2_12 Depth=1
	buffer_store_dword v38, v26, s[0:3], 0 offen
	s_branch .LBB2_11
.LBB2_18:
	s_or_b64 exec, exec, s[6:7]
	s_and_saveexec_b64 s[6:7], s[4:5]
	s_cbranch_execz .LBB2_20
; %bb.19:
	v_cmp_gt_f64_e32 vcc, 0, v[106:107]
	v_mov_b32_e32 v24, 0
	v_lshl_add_u32 v25, v23, 2, v24
	v_lshl_add_u32 v26, v22, 2, v24
	v_lshl_add_u32 v24, v108, 2, v24
	buffer_store_dword v22, v24, s[0:3], 0 offen offset:40
	s_or_b64 s[4:5], s[38:39], vcc
	v_cndmask_b32_e64 v22, v109, -1, s[4:5]
	buffer_store_dword v23, v26, s[0:3], 0 offen offset:40
	buffer_store_dword v22, v25, s[0:3], 0 offen offset:40
.LBB2_20:
	s_or_b64 exec, exec, s[6:7]
	buffer_load_dword v27, off, s[0:3], 0 offset:80
	v_mov_b32_e32 v26, -1
	s_mov_b64 s[96:97], 0
	v_mov_b32_e32 v30, -1
	v_mov_b32_e32 v31, -1
	;; [unrolled: 1-line block ×3, first 2 shown]
	s_waitcnt vmcnt(0)
	v_cmp_eq_u32_e32 vcc, 1, v27
	v_cndmask_b32_e32 v22, v1, v3, vcc
	v_cmp_eq_u32_e64 s[6:7], 2, v27
	v_cndmask_b32_e64 v22, v22, v5, s[6:7]
	v_cndmask_b32_e32 v23, v0, v2, vcc
	v_cmp_eq_u32_e32 vcc, 3, v27
	v_cndmask_b32_e32 v22, v22, v7, vcc
	v_cndmask_b32_e64 v23, v23, v4, s[6:7]
	v_cmp_eq_u32_e64 s[6:7], 4, v27
	v_cndmask_b32_e64 v22, v22, v9, s[6:7]
	v_cndmask_b32_e32 v23, v23, v6, vcc
	v_cmp_eq_u32_e32 vcc, 5, v27
	v_cndmask_b32_e32 v22, v22, v11, vcc
	v_cndmask_b32_e64 v23, v23, v8, s[6:7]
	;; [unrolled: 6-line block ×3, first 2 shown]
	v_cmp_eq_u32_e64 s[6:7], 8, v27
	v_cndmask_b32_e64 v23, v22, v17, s[6:7]
	v_cndmask_b32_e32 v22, v24, v14, vcc
	v_cmp_lt_i32_e64 s[4:5], -1, v27
	v_cndmask_b32_e64 v22, v22, v16, s[6:7]
	s_and_saveexec_b64 s[14:15], s[4:5]
	s_cbranch_execz .LBB2_24
; %bb.21:
	v_mov_b32_e32 v25, v23
	v_mov_b32_e32 v26, -1
	s_mov_b64 s[16:17], 0
	v_mov_b32_e32 v29, 0
	v_mov_b32_e32 v32, v27
	v_mov_b32_e32 v30, -1
	v_mov_b32_e32 v31, -1
	;; [unrolled: 1-line block ×3, first 2 shown]
	v_mov_b32_e32 v24, v22
                                        ; implicit-def: $sgpr18_sgpr19
.LBB2_22:                               ; =>This Inner Loop Header: Depth=1
	v_lshl_add_u32 v33, v32, 2, v29
	buffer_load_dword v33, v33, s[0:3], 0 offen offset:40
	v_cmp_le_f64_e32 vcc, 0, v[24:25]
	v_cmp_gt_f64_e64 s[6:7], 0, v[24:25]
	s_waitcnt vmcnt(0)
	v_cmp_gt_i32_e64 s[8:9], 0, v33
	v_cndmask_b32_e64 v34, v33, v27, s[8:9]
	v_cmp_eq_u32_e64 s[10:11], 1, v34
	v_cndmask_b32_e64 v24, v1, v3, s[10:11]
	v_cmp_eq_u32_e64 s[12:13], 2, v34
	v_cndmask_b32_e64 v24, v24, v5, s[12:13]
	v_cndmask_b32_e64 v25, v0, v2, s[10:11]
	v_cmp_eq_u32_e64 s[10:11], 3, v34
	v_cndmask_b32_e64 v24, v24, v7, s[10:11]
	;; [unrolled: 3-line block ×7, first 2 shown]
	v_cndmask_b32_e64 v24, v35, v14, s[10:11]
	v_cndmask_b32_e64 v24, v24, v16, s[12:13]
	v_cmp_gt_f64_e64 s[10:11], 0, v[24:25]
	v_cmp_le_f64_e64 s[12:13], 0, v[24:25]
	s_and_b64 vcc, vcc, s[10:11]
	s_and_b64 s[10:11], s[6:7], s[12:13]
	s_or_b64 s[16:17], s[8:9], s[16:17]
	s_andn2_b64 s[8:9], s[18:19], exec
	s_and_b64 s[6:7], s[6:7], exec
	v_cndmask_b32_e32 v31, v31, v34, vcc
	v_cndmask_b32_e64 v28, v28, v34, s[10:11]
	v_cndmask_b32_e32 v26, v26, v32, vcc
	v_cndmask_b32_e64 v30, v30, v32, s[10:11]
	v_mov_b32_e32 v32, v33
	s_or_b64 s[18:19], s[8:9], s[6:7]
	s_andn2_b64 exec, exec, s[16:17]
	s_cbranch_execnz .LBB2_22
; %bb.23:
	s_or_b64 exec, exec, s[16:17]
	s_and_b64 s[96:97], s[18:19], exec
.LBB2_24:
	s_or_b64 exec, exec, s[14:15]
	v_mov_b32_e32 v25, -1
	v_cmp_lt_i32_e64 s[6:7], -1, v26
	v_mov_b32_e32 v24, -1
	v_mov_b32_e32 v29, -1
	s_and_saveexec_b64 s[98:99], s[6:7]
	s_cbranch_execz .LBB2_26
; %bb.25:
	v_cmp_eq_u32_e64 s[8:9], 1, v31
	v_cndmask_b32_e64 v24, v1, v3, s[8:9]
	v_cmp_eq_u32_e64 s[10:11], 2, v31
	v_cndmask_b32_e64 v24, v24, v5, s[10:11]
	;; [unrolled: 2-line block ×8, first 2 shown]
	v_cndmask_b32_e64 v24, v0, v2, s[8:9]
	v_cndmask_b32_e64 v24, v24, v4, s[10:11]
	;; [unrolled: 1-line block ×7, first 2 shown]
	v_cmp_eq_u32_e64 s[54:55], 1, v26
	v_cndmask_b32_e64 v31, v24, v16, s[22:23]
	v_cndmask_b32_e64 v24, v1, v3, s[54:55]
	v_cmp_eq_u32_e64 s[56:57], 2, v26
	v_cndmask_b32_e64 v24, v24, v5, s[56:57]
	v_cmp_eq_u32_e64 s[24:25], 3, v26
	;; [unrolled: 2-line block ×7, first 2 shown]
	v_cndmask_b32_e64 v36, v24, v17, s[36:37]
	v_cndmask_b32_e64 v24, v0, v2, s[54:55]
	;; [unrolled: 1-line block ×9, first 2 shown]
	v_add_f64 v[33:34], -v[31:32], 0
	v_add_f64 v[37:38], v[35:36], -v[31:32]
	buffer_load_dword v24, off, s[0:3], 0 offset:84
	v_cndmask_b32_e64 v29, v85, v81, s[54:55]
	v_cndmask_b32_e64 v29, v29, v83, s[56:57]
	;; [unrolled: 1-line block ×6, first 2 shown]
	v_div_scale_f64 v[39:40], s[38:39], v[37:38], v[37:38], v[33:34]
	v_cndmask_b32_e64 v29, v29, v112, s[34:35]
	v_cmp_eq_u32_e64 s[38:39], 1, v30
	v_cmp_eq_u32_e64 s[72:73], 1, v28
	;; [unrolled: 1-line block ×13, first 2 shown]
	v_rcp_f64_e32 v[41:42], v[39:40]
	v_cmp_eq_u32_e64 s[68:69], 7, v28
	v_cmp_eq_u32_e64 s[52:53], 8, v30
	;; [unrolled: 1-line block ×3, first 2 shown]
	v_fma_f64 v[43:44], -v[39:40], v[41:42], 1.0
	v_fma_f64 v[41:42], v[41:42], v[43:44], v[41:42]
	v_div_scale_f64 v[43:44], vcc, v[33:34], v[37:38], v[33:34]
	v_fma_f64 v[45:46], -v[39:40], v[41:42], 1.0
	v_fma_f64 v[41:42], v[41:42], v[45:46], v[41:42]
	v_mul_f64 v[45:46], v[43:44], v[41:42]
	v_fma_f64 v[39:40], -v[39:40], v[45:46], v[43:44]
	v_cndmask_b32_e64 v43, v85, v81, s[8:9]
	v_cndmask_b32_e64 v43, v43, v83, s[10:11]
	;; [unrolled: 1-line block ×4, first 2 shown]
	s_waitcnt vmcnt(0)
	v_cmp_eq_u32_e64 s[88:89], 1, v24
	v_cmp_eq_u32_e64 s[90:91], 0, v24
	;; [unrolled: 1-line block ×3, first 2 shown]
	v_div_fmas_f64 v[39:40], v[39:40], v[41:42], v[45:46]
	v_cndmask_b32_e64 v42, v84, v80, s[54:55]
	v_cndmask_b32_e64 v42, v42, v82, s[56:57]
	v_mov_b32_e32 v41, 0
	v_cmp_eq_u32_e64 s[84:85], 3, v24
	v_cmp_eq_u32_e64 s[82:83], 4, v24
	;; [unrolled: 1-line block ×6, first 2 shown]
	v_div_fixup_f64 v[33:34], v[39:40], v[37:38], v[33:34]
	v_cndmask_b32_e64 v37, v42, v92, s[24:25]
	v_cndmask_b32_e64 v38, v43, v93, s[12:13]
	;; [unrolled: 1-line block ×7, first 2 shown]
	v_add_f64 v[37:38], -v[33:34], 1.0
	v_cndmask_b32_e64 v42, v42, v110, s[16:17]
	v_cndmask_b32_e64 v39, v39, v117, s[16:17]
	;; [unrolled: 1-line block ×7, first 2 shown]
	v_mul_f64 v[31:32], v[31:32], v[37:38]
	v_cndmask_b32_e64 v40, v40, v111, s[22:23]
	v_cndmask_b32_e64 v39, v39, v115, s[22:23]
	v_mul_f64 v[39:40], v[39:40], v[37:38]
	v_fma_f64 v[31:32], v[35:36], v[33:34], v[31:32]
	v_cndmask_b32_e64 v36, v29, v111, s[36:37]
	v_lshl_add_u32 v29, v24, 2, v41
	buffer_load_dword v29, v29, s[0:3], 0 offen offset:40
	v_cndmask_b32_e64 v35, v43, v114, s[34:35]
	v_cndmask_b32_e64 v35, v35, v115, s[36:37]
	v_fma_f64 v[35:36], v[35:36], v[33:34], v[39:40]
	v_cndmask_b32_e64 v136, v3, v32, s[88:89]
	v_cndmask_b32_e64 v137, v1, v32, s[90:91]
	;; [unrolled: 1-line block ×50, first 2 shown]
	v_add_f64 v[2:3], -v[0:1], 0
	v_add_f64 v[6:7], v[4:5], -v[0:1]
	v_cndmask_b32_e64 v12, v91, v89, s[8:9]
	v_cndmask_b32_e64 v12, v12, v87, s[10:11]
	;; [unrolled: 1-line block ×7, first 2 shown]
	v_div_scale_f64 v[8:9], vcc, v[6:7], v[6:7], v[2:3]
	v_cndmask_b32_e64 v15, v14, v118, s[22:23]
	v_cndmask_b32_e64 v14, v90, v88, s[8:9]
	;; [unrolled: 1-line block ×14, first 2 shown]
	v_rcp_f64_e32 v[12:13], v[8:9]
	v_cndmask_b32_e64 v10, v10, v119, s[34:35]
	v_cndmask_b32_e64 v14, v14, v121, s[22:23]
	;; [unrolled: 1-line block ×4, first 2 shown]
	v_mul_f64 v[14:15], v[37:38], v[14:15]
	v_cndmask_b32_e64 v10, v10, v86, s[56:57]
	v_cndmask_b32_e64 v10, v10, v18, s[24:25]
	;; [unrolled: 1-line block ×7, first 2 shown]
	v_fma_f64 v[10:11], v[33:34], v[10:11], v[14:15]
	s_waitcnt vmcnt(0)
	v_lshl_add_u32 v14, v29, 2, v41
	buffer_load_dword v41, v14, s[0:3], 0 offen offset:40
	v_fma_f64 v[16:17], -v[8:9], v[12:13], 1.0
	v_cndmask_b32_e64 v115, v115, v35, s[74:75]
	v_cndmask_b32_e64 v114, v114, v35, s[76:77]
	;; [unrolled: 1-line block ×7, first 2 shown]
	v_fma_f64 v[12:13], v[12:13], v[16:17], v[12:13]
	v_div_scale_f64 v[16:17], vcc, v[2:3], v[6:7], v[2:3]
	v_cndmask_b32_e64 v122, v122, v10, s[76:77]
	v_cndmask_b32_e64 v124, v124, v10, s[78:79]
	;; [unrolled: 1-line block ×5, first 2 shown]
	v_fma_f64 v[14:15], -v[8:9], v[12:13], 1.0
	v_cndmask_b32_e64 v88, v88, v10, s[88:89]
	v_cndmask_b32_e64 v90, v90, v10, s[90:91]
	;; [unrolled: 1-line block ×7, first 2 shown]
	v_fma_f64 v[12:13], v[12:13], v[14:15], v[12:13]
	v_cndmask_b32_e64 v10, v10, v105, s[26:27]
	v_cndmask_b32_e64 v10, v10, v129, s[28:29]
	;; [unrolled: 1-line block ×7, first 2 shown]
	v_mul_f64 v[14:15], v[16:17], v[12:13]
	v_cndmask_b32_e64 v82, v82, v35, s[86:87]
	v_cndmask_b32_e64 v80, v80, v35, s[88:89]
	;; [unrolled: 1-line block ×7, first 2 shown]
	v_fma_f64 v[8:9], -v[8:9], v[14:15], v[16:17]
	v_cndmask_b32_e64 v16, v20, v97, s[10:11]
	v_cndmask_b32_e64 v16, v16, v103, s[12:13]
	;; [unrolled: 1-line block ×7, first 2 shown]
	v_div_fmas_f64 v[8:9], v[8:9], v[12:13], v[14:15]
	v_cndmask_b32_e64 v12, v100, v98, s[8:9]
	v_cndmask_b32_e64 v12, v12, v96, s[10:11]
	;; [unrolled: 1-line block ×9, first 2 shown]
	v_mul_f64 v[12:13], v[12:13], v[37:38]
	v_cndmask_b32_e64 v14, v18, v102, s[24:25]
	v_cndmask_b32_e64 v14, v14, v104, s[26:27]
	;; [unrolled: 1-line block ×5, first 2 shown]
	v_div_fixup_f64 v[30:31], v[8:9], v[6:7], v[2:3]
	v_cndmask_b32_e64 v9, v14, v130, s[36:37]
	v_fma_f64 v[2:3], v[9:10], v[33:34], v[12:13]
	v_cndmask_b32_e64 v93, v93, v36, s[84:85]
	v_cndmask_b32_e64 v83, v83, v36, s[86:87]
	;; [unrolled: 1-line block ×5, first 2 shown]
	v_add_f64 v[32:33], -v[30:31], 1.0
	v_cndmask_b32_e64 v89, v89, v11, s[88:89]
	v_cndmask_b32_e64 v130, v130, v2, s[74:75]
	;; [unrolled: 1-line block ×7, first 2 shown]
	v_mul_f64 v[0:1], v[0:1], v[32:33]
	v_cndmask_b32_e64 v96, v96, v2, s[86:87]
	v_cndmask_b32_e64 v98, v98, v2, s[88:89]
	;; [unrolled: 1-line block ×7, first 2 shown]
	v_fma_f64 v[0:1], v[4:5], v[30:31], v[0:1]
	v_cndmask_b32_e64 v4, v36, v81, s[38:39]
	v_cndmask_b32_e64 v4, v4, v83, s[40:41]
	;; [unrolled: 1-line block ×30, first 2 shown]
	v_mul_f64 v[18:19], v[18:19], v[32:33]
	v_cndmask_b32_e64 v2, v2, v82, s[58:59]
	v_cndmask_b32_e64 v2, v2, v92, s[60:61]
	;; [unrolled: 1-line block ×8, first 2 shown]
	v_fma_f64 v[18:19], v[2:3], v[30:31], v[18:19]
	v_cndmask_b32_e64 v87, v87, v11, s[86:87]
	v_cndmask_b32_e64 v34, v91, v89, s[38:39]
	;; [unrolled: 1-line block ×12, first 2 shown]
	v_cmp_eq_u32_e32 vcc, 8, v29
	v_cndmask_b32_e64 v34, v34, v119, s[50:51]
	v_cndmask_b32_e32 v111, v35, v19, vcc
	v_cndmask_b32_e64 v35, v34, v118, s[52:53]
	v_cndmask_b32_e64 v34, v90, v88, s[38:39]
	;; [unrolled: 1-line block ×18, first 2 shown]
	v_mul_f64 v[34:35], v[32:33], v[34:35]
	v_cmp_eq_u32_e64 s[22:23], 0, v29
	v_cndmask_b32_e64 v20, v20, v86, s[58:59]
	v_cndmask_b32_e64 v20, v20, v139, s[60:61]
	;; [unrolled: 1-line block ×14, first 2 shown]
	v_fma_f64 v[34:35], v[30:31], v[20:21], v[34:35]
	v_cndmask_b32_e64 v36, v36, v127, s[50:51]
	v_cndmask_b32_e32 v16, v39, v0, vcc
	v_cmp_eq_u32_e64 s[8:9], 7, v29
	v_cmp_eq_u32_e64 s[10:11], 6, v29
	;; [unrolled: 1-line block ×7, first 2 shown]
	v_cndmask_b32_e64 v39, v36, v126, s[52:53]
	v_cndmask_b32_e64 v36, v100, v98, s[38:39]
	v_cndmask_b32_e32 v115, v115, v18, vcc
	v_cndmask_b32_e64 v114, v114, v18, s[8:9]
	v_cndmask_b32_e64 v116, v116, v18, s[10:11]
	;; [unrolled: 1-line block ×26, first 2 shown]
	v_mul_f64 v[32:33], v[38:39], v[32:33]
	v_cndmask_b32_e64 v18, v18, v96, s[58:59]
	v_cndmask_b32_e64 v18, v18, v102, s[60:61]
	;; [unrolled: 1-line block ×7, first 2 shown]
	v_fma_f64 v[30:31], v[36:37], v[30:31], v[32:33]
	v_cndmask_b32_e32 v17, v49, v1, vcc
	v_cndmask_b32_e64 v15, v106, v1, s[8:9]
	v_cndmask_b32_e64 v14, v40, v0, s[8:9]
	;; [unrolled: 1-line block ×23, first 2 shown]
	v_cndmask_b32_e32 v118, v118, v35, vcc
	v_cndmask_b32_e32 v121, v121, v34, vcc
	v_cndmask_b32_e64 v119, v119, v35, s[8:9]
	v_cndmask_b32_e64 v122, v122, v34, s[8:9]
	;; [unrolled: 1-line block ×14, first 2 shown]
	v_cndmask_b32_e32 v126, v126, v31, vcc
	v_cndmask_b32_e32 v130, v130, v30, vcc
	v_cndmask_b32_e64 v127, v127, v31, s[8:9]
	v_cndmask_b32_e64 v131, v131, v30, s[8:9]
	;; [unrolled: 1-line block ×16, first 2 shown]
	s_waitcnt vmcnt(0)
	buffer_store_dword v41, off, s[0:3], 0 offset:84
.LBB2_26:
	s_or_b64 exec, exec, s[98:99]
	buffer_store_dword v25, off, s[0:3], 0 offset:80
	s_and_saveexec_b64 s[22:23], s[4:5]
	s_cbranch_execz .LBB2_35
; %bb.27:
	s_mov_b64 s[24:25], 0
	v_mov_b32_e32 v25, 0
	s_branch .LBB2_29
.LBB2_28:                               ;   in Loop: Header=BB2_29 Depth=1
	s_or_b64 exec, exec, s[10:11]
	s_waitcnt vmcnt(0)
	v_cmp_gt_i32_e32 vcc, 0, v30
	s_or_b64 s[24:25], vcc, s[24:25]
	v_mov_b32_e32 v27, v30
	s_andn2_b64 exec, exec, s[24:25]
	s_cbranch_execz .LBB2_35
.LBB2_29:                               ; =>This Inner Loop Header: Depth=1
	v_lshl_add_u32 v31, v27, 2, v25
	buffer_load_dword v30, v31, s[0:3], 0 offen offset:40
	v_cmp_eq_u32_e32 vcc, 1, v27
	v_cndmask_b32_e32 v32, v1, v3, vcc
	v_cmp_eq_u32_e64 s[8:9], 2, v27
	v_cndmask_b32_e64 v32, v32, v5, s[8:9]
	v_cmp_eq_u32_e64 s[10:11], 3, v27
	v_cndmask_b32_e64 v32, v32, v7, s[10:11]
	;; [unrolled: 2-line block ×7, first 2 shown]
	v_cndmask_b32_e32 v32, v0, v2, vcc
	v_cndmask_b32_e64 v32, v32, v4, s[8:9]
	v_cndmask_b32_e64 v32, v32, v6, s[10:11]
	;; [unrolled: 1-line block ×7, first 2 shown]
	v_cmp_ngt_f64_e32 vcc, 0, v[32:33]
	s_mov_b64 s[8:9], 0
	s_and_saveexec_b64 s[10:11], vcc
	s_xor_b64 s[10:11], exec, s[10:11]
	s_cbranch_execnz .LBB2_32
; %bb.30:                               ;   in Loop: Header=BB2_29 Depth=1
	s_or_saveexec_b64 s[10:11], s[10:11]
	v_mov_b32_e32 v32, 0x50
	s_xor_b64 exec, exec, s[10:11]
	s_cbranch_execnz .LBB2_33
.LBB2_31:                               ;   in Loop: Header=BB2_29 Depth=1
	s_or_b64 exec, exec, s[10:11]
	s_and_saveexec_b64 s[10:11], s[8:9]
	s_cbranch_execz .LBB2_28
	s_branch .LBB2_34
.LBB2_32:                               ;   in Loop: Header=BB2_29 Depth=1
	buffer_load_dword v31, off, s[0:3], 0 offset:80
	s_waitcnt vmcnt(0)
	v_cmp_eq_u32_e32 vcc, -1, v31
	s_and_b64 s[8:9], vcc, exec
                                        ; implicit-def: $vgpr31
	s_or_saveexec_b64 s[10:11], s[10:11]
	v_mov_b32_e32 v32, 0x50
	s_xor_b64 exec, exec, s[10:11]
	s_cbranch_execz .LBB2_31
.LBB2_33:                               ;   in Loop: Header=BB2_29 Depth=1
	buffer_load_dword v33, off, s[0:3], 0 offset:84
	v_mov_b32_e32 v32, 0x54
	s_or_b64 s[8:9], s[8:9], exec
	s_waitcnt vmcnt(0)
	buffer_store_dword v33, v31, s[0:3], 0 offen offset:40
	s_or_b64 exec, exec, s[10:11]
	s_and_saveexec_b64 s[10:11], s[8:9]
	s_cbranch_execz .LBB2_28
.LBB2_34:                               ;   in Loop: Header=BB2_29 Depth=1
	buffer_store_dword v27, v32, s[0:3], 0 offen
	s_branch .LBB2_28
.LBB2_35:
	s_or_b64 exec, exec, s[22:23]
	s_and_saveexec_b64 s[8:9], s[6:7]
	s_cbranch_execz .LBB2_37
; %bb.36:
	v_cmp_gt_f64_e32 vcc, 0, v[22:23]
	v_mov_b32_e32 v22, 0
	v_lshl_add_u32 v23, v29, 2, v22
	v_lshl_add_u32 v25, v24, 2, v22
	;; [unrolled: 1-line block ×3, first 2 shown]
	buffer_store_dword v24, v22, s[0:3], 0 offen offset:40
	s_and_b64 s[4:5], s[4:5], vcc
	s_or_b64 s[4:5], s[96:97], s[4:5]
	v_cndmask_b32_e64 v22, v28, -1, s[4:5]
	buffer_store_dword v29, v25, s[0:3], 0 offen offset:40
	buffer_store_dword v22, v23, s[0:3], 0 offen offset:40
.LBB2_37:
	s_or_b64 exec, exec, s[8:9]
	buffer_load_dword v27, off, s[0:3], 0 offset:80
	v_mov_b32_e32 v26, -1
	s_mov_b64 s[96:97], 0
	v_mov_b32_e32 v30, -1
	v_mov_b32_e32 v31, -1
	;; [unrolled: 1-line block ×3, first 2 shown]
	s_waitcnt vmcnt(0)
	v_cmp_eq_u32_e32 vcc, 1, v27
	v_cndmask_b32_e32 v22, v85, v81, vcc
	v_cmp_eq_u32_e64 s[6:7], 2, v27
	v_cndmask_b32_e64 v22, v22, v83, s[6:7]
	v_cndmask_b32_e32 v23, v84, v80, vcc
	v_cmp_eq_u32_e32 vcc, 3, v27
	v_cndmask_b32_e32 v22, v22, v93, vcc
	v_cndmask_b32_e64 v23, v23, v82, s[6:7]
	v_cmp_eq_u32_e64 s[6:7], 4, v27
	v_cndmask_b32_e64 v22, v22, v95, s[6:7]
	v_cndmask_b32_e32 v23, v23, v92, vcc
	v_cmp_eq_u32_e32 vcc, 5, v27
	v_cndmask_b32_e32 v22, v22, v110, vcc
	v_cndmask_b32_e64 v23, v23, v94, s[6:7]
	;; [unrolled: 6-line block ×3, first 2 shown]
	v_cmp_eq_u32_e64 s[6:7], 8, v27
	v_cndmask_b32_e64 v23, v22, v111, s[6:7]
	v_cndmask_b32_e32 v22, v24, v114, vcc
	v_cmp_lt_i32_e64 s[4:5], -1, v27
	v_cndmask_b32_e64 v22, v22, v115, s[6:7]
	s_and_saveexec_b64 s[14:15], s[4:5]
	s_cbranch_execz .LBB2_41
; %bb.38:
	v_mov_b32_e32 v25, v23
	v_mov_b32_e32 v26, -1
	s_mov_b64 s[16:17], 0
	v_mov_b32_e32 v29, 0
	v_mov_b32_e32 v32, v27
	v_mov_b32_e32 v30, -1
	v_mov_b32_e32 v31, -1
	;; [unrolled: 1-line block ×3, first 2 shown]
	v_mov_b32_e32 v24, v22
                                        ; implicit-def: $sgpr18_sgpr19
.LBB2_39:                               ; =>This Inner Loop Header: Depth=1
	v_lshl_add_u32 v33, v32, 2, v29
	buffer_load_dword v33, v33, s[0:3], 0 offen offset:40
	v_cmp_le_f64_e32 vcc, 0, v[24:25]
	v_cmp_gt_f64_e64 s[6:7], 0, v[24:25]
	s_waitcnt vmcnt(0)
	v_cmp_gt_i32_e64 s[8:9], 0, v33
	v_cndmask_b32_e64 v34, v33, v27, s[8:9]
	v_cmp_eq_u32_e64 s[10:11], 1, v34
	v_cndmask_b32_e64 v24, v85, v81, s[10:11]
	v_cmp_eq_u32_e64 s[12:13], 2, v34
	v_cndmask_b32_e64 v24, v24, v83, s[12:13]
	v_cndmask_b32_e64 v25, v84, v80, s[10:11]
	v_cmp_eq_u32_e64 s[10:11], 3, v34
	v_cndmask_b32_e64 v24, v24, v93, s[10:11]
	v_cndmask_b32_e64 v25, v25, v82, s[12:13]
	v_cmp_eq_u32_e64 s[12:13], 4, v34
	v_cndmask_b32_e64 v24, v24, v95, s[12:13]
	v_cndmask_b32_e64 v25, v25, v92, s[10:11]
	v_cmp_eq_u32_e64 s[10:11], 5, v34
	v_cndmask_b32_e64 v24, v24, v110, s[10:11]
	v_cndmask_b32_e64 v25, v25, v94, s[12:13]
	v_cmp_eq_u32_e64 s[12:13], 6, v34
	v_cndmask_b32_e64 v24, v24, v113, s[12:13]
	v_cndmask_b32_e64 v25, v25, v117, s[10:11]
	v_cmp_eq_u32_e64 s[10:11], 7, v34
	v_cndmask_b32_e64 v24, v24, v112, s[10:11]
	v_cndmask_b32_e64 v35, v25, v116, s[12:13]
	v_cmp_eq_u32_e64 s[12:13], 8, v34
	v_cndmask_b32_e64 v25, v24, v111, s[12:13]
	v_cndmask_b32_e64 v24, v35, v114, s[10:11]
	v_cndmask_b32_e64 v24, v24, v115, s[12:13]
	v_cmp_gt_f64_e64 s[10:11], 0, v[24:25]
	v_cmp_le_f64_e64 s[12:13], 0, v[24:25]
	s_and_b64 vcc, vcc, s[10:11]
	s_and_b64 s[10:11], s[6:7], s[12:13]
	s_or_b64 s[16:17], s[8:9], s[16:17]
	s_andn2_b64 s[8:9], s[18:19], exec
	s_and_b64 s[6:7], s[6:7], exec
	v_cndmask_b32_e32 v31, v31, v34, vcc
	v_cndmask_b32_e64 v28, v28, v34, s[10:11]
	v_cndmask_b32_e32 v26, v26, v32, vcc
	v_cndmask_b32_e64 v30, v30, v32, s[10:11]
	v_mov_b32_e32 v32, v33
	s_or_b64 s[18:19], s[8:9], s[6:7]
	s_andn2_b64 exec, exec, s[16:17]
	s_cbranch_execnz .LBB2_39
; %bb.40:
	s_or_b64 exec, exec, s[16:17]
	s_and_b64 s[96:97], s[18:19], exec
.LBB2_41:
	s_or_b64 exec, exec, s[14:15]
	v_mov_b32_e32 v25, -1
	v_cmp_lt_i32_e64 s[6:7], -1, v26
	v_mov_b32_e32 v24, -1
	v_mov_b32_e32 v29, -1
	s_and_saveexec_b64 s[98:99], s[6:7]
	s_cbranch_execz .LBB2_43
; %bb.42:
	v_cmp_eq_u32_e64 s[8:9], 1, v31
	v_cndmask_b32_e64 v24, v85, v81, s[8:9]
	v_cmp_eq_u32_e64 s[10:11], 2, v31
	v_cndmask_b32_e64 v24, v24, v83, s[10:11]
	;; [unrolled: 2-line block ×8, first 2 shown]
	v_cndmask_b32_e64 v24, v84, v80, s[8:9]
	v_cndmask_b32_e64 v24, v24, v82, s[10:11]
	;; [unrolled: 1-line block ×7, first 2 shown]
	v_cmp_eq_u32_e64 s[54:55], 1, v26
	v_cndmask_b32_e64 v31, v24, v115, s[22:23]
	v_cndmask_b32_e64 v24, v85, v81, s[54:55]
	v_cmp_eq_u32_e64 s[56:57], 2, v26
	v_cndmask_b32_e64 v24, v24, v83, s[56:57]
	v_cmp_eq_u32_e64 s[24:25], 3, v26
	;; [unrolled: 2-line block ×7, first 2 shown]
	v_cndmask_b32_e64 v36, v24, v111, s[36:37]
	v_cndmask_b32_e64 v24, v84, v80, s[54:55]
	;; [unrolled: 1-line block ×9, first 2 shown]
	v_add_f64 v[33:34], -v[31:32], 0
	v_add_f64 v[37:38], v[35:36], -v[31:32]
	buffer_load_dword v24, off, s[0:3], 0 offset:84
	v_cndmask_b32_e64 v29, v1, v3, s[54:55]
	v_cndmask_b32_e64 v29, v29, v5, s[56:57]
	v_cndmask_b32_e64 v29, v29, v7, s[24:25]
	v_cndmask_b32_e64 v29, v29, v9, s[26:27]
	v_cndmask_b32_e64 v29, v29, v11, s[28:29]
	v_cndmask_b32_e64 v29, v29, v13, s[30:31]
	v_div_scale_f64 v[39:40], s[38:39], v[37:38], v[37:38], v[33:34]
	v_cndmask_b32_e64 v29, v29, v15, s[34:35]
	v_cmp_eq_u32_e64 s[38:39], 1, v30
	v_cmp_eq_u32_e64 s[40:41], 2, v30
	;; [unrolled: 1-line block ×13, first 2 shown]
	v_rcp_f64_e32 v[41:42], v[39:40]
	v_cmp_eq_u32_e64 s[66:67], 6, v28
	v_cmp_eq_u32_e64 s[68:69], 7, v28
	;; [unrolled: 1-line block ×3, first 2 shown]
	v_fma_f64 v[43:44], -v[39:40], v[41:42], 1.0
	v_fma_f64 v[41:42], v[41:42], v[43:44], v[41:42]
	v_div_scale_f64 v[43:44], vcc, v[33:34], v[37:38], v[33:34]
	v_fma_f64 v[45:46], -v[39:40], v[41:42], 1.0
	v_fma_f64 v[41:42], v[41:42], v[45:46], v[41:42]
	v_mul_f64 v[45:46], v[43:44], v[41:42]
	v_fma_f64 v[39:40], -v[39:40], v[45:46], v[43:44]
	v_cndmask_b32_e64 v43, v0, v2, s[8:9]
	v_cndmask_b32_e64 v43, v43, v4, s[10:11]
	;; [unrolled: 1-line block ×3, first 2 shown]
	s_waitcnt vmcnt(0)
	v_cmp_eq_u32_e64 s[80:81], 1, v24
	v_cmp_eq_u32_e64 s[82:83], 0, v24
	;; [unrolled: 1-line block ×4, first 2 shown]
	v_div_fmas_f64 v[39:40], v[39:40], v[41:42], v[45:46]
	v_cndmask_b32_e64 v41, v0, v2, s[54:55]
	v_cndmask_b32_e64 v42, v1, v3, s[8:9]
	;; [unrolled: 1-line block ×6, first 2 shown]
	v_cmp_eq_u32_e64 s[74:75], 4, v24
	v_mov_b32_e32 v45, 0
	v_cmp_eq_u32_e64 s[90:91], 5, v24
	v_cmp_eq_u32_e64 s[88:89], 6, v24
	;; [unrolled: 1-line block ×4, first 2 shown]
	v_div_fixup_f64 v[33:34], v[39:40], v[37:38], v[33:34]
	v_cndmask_b32_e64 v37, v41, v8, s[26:27]
	v_cndmask_b32_e64 v38, v42, v9, s[14:15]
	;; [unrolled: 1-line block ×7, first 2 shown]
	v_add_f64 v[37:38], -v[33:34], 1.0
	v_cndmask_b32_e64 v39, v39, v12, s[18:19]
	v_cndmask_b32_e64 v40, v40, v15, s[20:21]
	v_cndmask_b32_e64 v39, v39, v14, s[20:21]
	v_cndmask_b32_e64 v40, v40, v17, s[22:23]
	v_cndmask_b32_e64 v39, v39, v16, s[22:23]
	v_cndmask_b32_e64 v41, v41, v12, s[30:31]
	v_cndmask_b32_e64 v41, v41, v14, s[34:35]
	v_mul_f64 v[31:32], v[31:32], v[37:38]
	v_mul_f64 v[39:40], v[39:40], v[37:38]
	v_cndmask_b32_e64 v42, v29, v17, s[36:37]
	v_cndmask_b32_e64 v41, v41, v16, s[36:37]
	;; [unrolled: 1-line block ×3, first 2 shown]
	v_fma_f64 v[31:32], v[35:36], v[33:34], v[31:32]
	v_fma_f64 v[39:40], v[41:42], v[33:34], v[39:40]
	v_cndmask_b32_e64 v41, v29, v87, s[56:57]
	v_lshl_add_u32 v29, v24, 2, v45
	buffer_load_dword v29, v29, s[0:3], 0 offen offset:40
	v_cndmask_b32_e64 v81, v81, v32, s[80:81]
	v_cndmask_b32_e64 v85, v85, v32, s[82:83]
	;; [unrolled: 1-line block ×55, first 2 shown]
	v_add_f64 v[14:15], -v[30:31], 0
	v_add_f64 v[16:17], v[35:36], -v[30:31]
	v_cndmask_b32_e64 v109, v2, v39, s[80:81]
	v_cndmask_b32_e64 v2, v91, v89, s[8:9]
	;; [unrolled: 1-line block ×10, first 2 shown]
	v_div_scale_f64 v[43:44], vcc, v[16:17], v[16:17], v[14:15]
	v_cndmask_b32_e64 v2, v2, v86, s[10:11]
	v_cndmask_b32_e64 v2, v2, v18, s[12:13]
	v_cndmask_b32_e64 v48, v12, v39, s[88:89]
	v_cndmask_b32_e64 v49, v10, v39, s[90:91]
	v_cndmask_b32_e64 v106, v8, v39, s[74:75]
	v_cndmask_b32_e64 v107, v6, v39, s[76:77]
	v_cndmask_b32_e64 v39, v0, v39, s[82:83]
	v_cndmask_b32_e64 v0, v41, v19, s[24:25]
	v_cndmask_b32_e64 v2, v2, v20, s[14:15]
	v_cndmask_b32_e64 v0, v0, v21, s[26:27]
	v_cndmask_b32_e64 v2, v2, v125, s[16:17]
	v_cndmask_b32_e64 v0, v0, v120, s[28:29]
	v_cndmask_b32_e64 v2, v2, v124, s[18:19]
	v_cndmask_b32_e64 v0, v0, v123, s[30:31]
	v_cndmask_b32_e64 v2, v2, v122, s[20:21]
	v_cndmask_b32_e64 v0, v0, v119, s[34:35]
	v_cndmask_b32_e64 v41, v2, v121, s[22:23]
	v_cndmask_b32_e64 v136, v13, v40, s[88:89]
	v_cndmask_b32_e64 v13, v0, v118, s[36:37]
	v_cndmask_b32_e64 v0, v90, v88, s[54:55]
	v_mul_f64 v[41:42], v[37:38], v[41:42]
	v_cndmask_b32_e64 v0, v0, v86, s[56:57]
	v_cndmask_b32_e64 v0, v0, v18, s[24:25]
	;; [unrolled: 1-line block ×7, first 2 shown]
	v_fma_f64 v[12:13], v[33:34], v[12:13], v[41:42]
	v_cndmask_b32_e64 v41, v9, v40, s[74:75]
	v_rcp_f64_e32 v[8:9], v[43:44]
	v_cndmask_b32_e64 v11, v11, v40, s[90:91]
	v_cndmask_b32_e64 v42, v7, v40, s[76:77]
	;; [unrolled: 1-line block ×15, first 2 shown]
	v_fma_f64 v[0:1], -v[43:44], v[8:9], 1.0
	v_cndmask_b32_e64 v12, v3, v96, s[56:57]
	v_cndmask_b32_e64 v3, v101, v99, s[8:9]
	;; [unrolled: 1-line block ×7, first 2 shown]
	v_fma_f64 v[0:1], v[8:9], v[0:1], v[8:9]
	v_cndmask_b32_e64 v7, v7, v127, s[20:21]
	v_cndmask_b32_e64 v8, v7, v126, s[22:23]
	s_waitcnt vmcnt(0)
	v_lshl_add_u32 v7, v29, 2, v45
	v_div_scale_f64 v[5:6], vcc, v[14:15], v[16:17], v[14:15]
	buffer_load_dword v20, v7, s[0:3], 0 offen offset:40
	v_cndmask_b32_e64 v2, v101, v99, s[54:55]
	v_fma_f64 v[3:4], -v[43:44], v[0:1], 1.0
	v_cndmask_b32_e64 v2, v2, v97, s[56:57]
	v_cndmask_b32_e64 v2, v2, v103, s[24:25]
	;; [unrolled: 1-line block ×7, first 2 shown]
	v_fma_f64 v[3:4], v[0:1], v[3:4], v[0:1]
	v_cndmask_b32_e64 v0, v100, v98, s[8:9]
	v_cndmask_b32_e64 v0, v0, v96, s[10:11]
	;; [unrolled: 1-line block ×7, first 2 shown]
	v_mul_f64 v[9:10], v[5:6], v[3:4]
	v_cndmask_b32_e64 v7, v0, v130, s[22:23]
	v_mul_f64 v[7:8], v[7:8], v[37:38]
	v_cndmask_b32_e64 v0, v12, v102, s[24:25]
	v_cndmask_b32_e64 v0, v0, v104, s[26:27]
	;; [unrolled: 1-line block ×5, first 2 shown]
	v_fma_f64 v[5:6], -v[43:44], v[9:10], v[5:6]
	v_cndmask_b32_e64 v1, v0, v130, s[36:37]
	v_fma_f64 v[0:1], v[1:2], v[33:34], v[7:8]
	v_cndmask_b32_e64 v45, v89, v13, s[80:81]
	v_cndmask_b32_e64 v91, v91, v13, s[82:83]
	v_cndmask_b32_e64 v43, v19, v13, s[76:77]
	v_cndmask_b32_e64 v44, v87, v13, s[78:79]
	v_cndmask_b32_e64 v34, v21, v13, s[74:75]
	v_div_fmas_f64 v[2:3], v[5:6], v[3:4], v[9:10]
	v_cndmask_b32_e64 v120, v120, v13, s[90:91]
	v_cndmask_b32_e64 v130, v130, v0, s[84:85]
	;; [unrolled: 1-line block ×15, first 2 shown]
	v_div_fixup_f64 v[32:33], v[2:3], v[16:17], v[14:15]
	v_cndmask_b32_e64 v2, v40, v138, s[38:39]
	v_cndmask_b32_e64 v2, v2, v137, s[40:41]
	;; [unrolled: 1-line block ×9, first 2 shown]
	v_add_f64 v[37:38], -v[32:33], 1.0
	v_cndmask_b32_e64 v2, v2, v108, s[40:41]
	v_cndmask_b32_e64 v2, v2, v107, s[42:43]
	;; [unrolled: 1-line block ×11, first 2 shown]
	v_mul_f64 v[4:5], v[4:5], v[37:38]
	v_cndmask_b32_e64 v0, v0, v108, s[58:59]
	v_cndmask_b32_e64 v0, v0, v107, s[60:61]
	v_cndmask_b32_e64 v0, v0, v106, s[62:63]
	v_cndmask_b32_e64 v0, v0, v49, s[64:65]
	v_cndmask_b32_e64 v0, v0, v48, s[66:67]
	v_cndmask_b32_e64 v0, v0, v47, s[68:69]
	v_cndmask_b32_e64 v2, v0, v46, s[70:71]
	v_cndmask_b32_e64 v126, v126, v1, s[84:85]
	v_cndmask_b32_e64 v127, v127, v1, s[86:87]
	v_cndmask_b32_e64 v128, v128, v1, s[88:89]
	v_cndmask_b32_e64 v129, v129, v1, s[90:91]
	v_fma_f64 v[18:19], v[2:3], v[32:33], v[4:5]
	v_cndmask_b32_e64 v105, v105, v1, s[74:75]
	v_cndmask_b32_e64 v103, v103, v1, s[76:77]
	;; [unrolled: 1-line block ×5, first 2 shown]
	v_mul_f64 v[0:1], v[30:31], v[37:38]
	v_cndmask_b32_e64 v30, v91, v45, s[38:39]
	v_cndmask_b32_e64 v30, v30, v44, s[40:41]
	;; [unrolled: 1-line block ×10, first 2 shown]
	v_cmp_eq_u32_e32 vcc, 8, v29
	v_cmp_eq_u32_e64 s[8:9], 7, v29
	v_cmp_eq_u32_e64 s[10:11], 6, v29
	;; [unrolled: 1-line block ×8, first 2 shown]
	v_cndmask_b32_e64 v31, v30, v118, s[52:53]
	v_cndmask_b32_e64 v30, v90, v88, s[38:39]
	s_waitcnt vmcnt(0)
	buffer_store_dword v20, off, s[0:3], 0 offset:84
	v_cndmask_b32_e32 v16, v46, v18, vcc
	v_cndmask_b32_e64 v14, v47, v18, s[8:9]
	v_cndmask_b32_e64 v12, v48, v18, s[10:11]
	;; [unrolled: 1-line block ×5, first 2 shown]
	v_fma_f64 v[20:21], v[35:36], v[32:33], v[0:1]
	v_cndmask_b32_e64 v4, v108, v18, s[18:19]
	v_cndmask_b32_e64 v2, v109, v18, s[20:21]
	;; [unrolled: 1-line block ×17, first 2 shown]
	v_cndmask_b32_e32 v17, v134, v19, vcc
	v_cndmask_b32_e64 v15, v135, v19, s[8:9]
	v_cndmask_b32_e64 v13, v136, v19, s[10:11]
	;; [unrolled: 1-line block ×10, first 2 shown]
	v_mul_f64 v[30:31], v[37:38], v[30:31]
	v_cndmask_b32_e64 v18, v18, v86, s[58:59]
	v_cndmask_b32_e64 v18, v18, v140, s[60:61]
	v_cndmask_b32_e64 v18, v18, v139, s[62:63]
	v_cndmask_b32_e64 v18, v18, v125, s[64:65]
	v_cndmask_b32_e64 v18, v18, v124, s[66:67]
	v_cndmask_b32_e64 v18, v18, v122, s[68:69]
	v_cndmask_b32_e64 v18, v18, v121, s[70:71]
	v_fma_f64 v[30:31], v[32:33], v[18:19], v[30:31]
	v_cndmask_b32_e32 v111, v111, v21, vcc
	v_cndmask_b32_e64 v112, v112, v21, s[8:9]
	v_cndmask_b32_e64 v113, v113, v21, s[10:11]
	v_cndmask_b32_e64 v110, v110, v21, s[12:13]
	v_cndmask_b32_e64 v95, v95, v21, s[14:15]
	v_cndmask_b32_e64 v93, v93, v21, s[16:17]
	v_cndmask_b32_e64 v83, v83, v21, s[18:19]
	v_cndmask_b32_e64 v81, v81, v21, s[20:21]
	v_cndmask_b32_e64 v85, v85, v21, s[22:23]
	v_cndmask_b32_e64 v21, v34, v31, s[14:15]
	v_cndmask_b32_e64 v34, v101, v99, s[38:39]
	v_cndmask_b32_e64 v34, v34, v97, s[40:41]
	v_cndmask_b32_e64 v34, v34, v103, s[42:43]
	v_cndmask_b32_e64 v34, v34, v105, s[44:45]
	v_cndmask_b32_e64 v34, v34, v129, s[46:47]
	v_cndmask_b32_e64 v34, v34, v128, s[48:49]
	v_cndmask_b32_e64 v34, v34, v127, s[50:51]
	v_cndmask_b32_e64 v40, v34, v126, s[52:53]
	v_cndmask_b32_e64 v34, v100, v98, s[38:39]
	v_cndmask_b32_e64 v18, v101, v99, s[72:73]
	v_cndmask_b32_e64 v34, v34, v96, s[40:41]
	v_cndmask_b32_e64 v18, v18, v97, s[58:59]
	v_cndmask_b32_e64 v34, v34, v102, s[42:43]
	v_cndmask_b32_e64 v18, v18, v103, s[60:61]
	v_cndmask_b32_e64 v34, v34, v104, s[44:45]
	v_cndmask_b32_e64 v18, v18, v105, s[62:63]
	v_cndmask_b32_e64 v34, v34, v133, s[46:47]
	v_cndmask_b32_e64 v18, v18, v129, s[64:65]
	v_cndmask_b32_e64 v34, v34, v132, s[48:49]
	v_cndmask_b32_e64 v18, v18, v128, s[66:67]
	v_cndmask_b32_e64 v34, v34, v131, s[50:51]
	v_cndmask_b32_e64 v18, v18, v127, s[68:69]
	v_cndmask_b32_e64 v39, v34, v130, s[52:53]
	v_cndmask_b32_e64 v35, v18, v126, s[70:71]
	v_cndmask_b32_e64 v18, v100, v98, s[72:73]
	v_mul_f64 v[36:37], v[39:40], v[37:38]
	v_cndmask_b32_e64 v18, v18, v96, s[58:59]
	v_cndmask_b32_e64 v18, v18, v102, s[60:61]
	;; [unrolled: 1-line block ×7, first 2 shown]
	v_fma_f64 v[32:33], v[34:35], v[32:33], v[36:37]
	v_cndmask_b32_e32 v115, v115, v20, vcc
	v_cndmask_b32_e64 v114, v114, v20, s[8:9]
	v_cndmask_b32_e64 v116, v116, v20, s[10:11]
	;; [unrolled: 1-line block ×8, first 2 shown]
	v_cndmask_b32_e32 v118, v118, v31, vcc
	v_cndmask_b32_e32 v121, v121, v30, vcc
	v_cndmask_b32_e64 v119, v119, v31, s[8:9]
	v_cndmask_b32_e64 v122, v122, v30, s[8:9]
	;; [unrolled: 1-line block ×15, first 2 shown]
	v_cndmask_b32_e32 v126, v126, v33, vcc
	v_cndmask_b32_e32 v130, v130, v32, vcc
	v_cndmask_b32_e64 v127, v127, v33, s[8:9]
	v_cndmask_b32_e64 v131, v131, v32, s[8:9]
	;; [unrolled: 1-line block ×16, first 2 shown]
.LBB2_43:
	s_or_b64 exec, exec, s[98:99]
	buffer_store_dword v25, off, s[0:3], 0 offset:80
	s_and_saveexec_b64 s[22:23], s[4:5]
	s_cbranch_execz .LBB2_52
; %bb.44:
	s_mov_b64 s[24:25], 0
	v_mov_b32_e32 v25, 0
	s_branch .LBB2_46
.LBB2_45:                               ;   in Loop: Header=BB2_46 Depth=1
	s_or_b64 exec, exec, s[10:11]
	s_waitcnt vmcnt(0)
	v_cmp_gt_i32_e32 vcc, 0, v30
	s_or_b64 s[24:25], vcc, s[24:25]
	v_mov_b32_e32 v27, v30
	s_andn2_b64 exec, exec, s[24:25]
	s_cbranch_execz .LBB2_52
.LBB2_46:                               ; =>This Inner Loop Header: Depth=1
	v_lshl_add_u32 v31, v27, 2, v25
	buffer_load_dword v30, v31, s[0:3], 0 offen offset:40
	v_cmp_eq_u32_e32 vcc, 1, v27
	v_cndmask_b32_e32 v32, v85, v81, vcc
	v_cmp_eq_u32_e64 s[8:9], 2, v27
	v_cndmask_b32_e64 v32, v32, v83, s[8:9]
	v_cmp_eq_u32_e64 s[10:11], 3, v27
	v_cndmask_b32_e64 v32, v32, v93, s[10:11]
	;; [unrolled: 2-line block ×7, first 2 shown]
	v_cndmask_b32_e32 v32, v84, v80, vcc
	v_cndmask_b32_e64 v32, v32, v82, s[8:9]
	v_cndmask_b32_e64 v32, v32, v92, s[10:11]
	;; [unrolled: 1-line block ×7, first 2 shown]
	v_cmp_ngt_f64_e32 vcc, 0, v[32:33]
	s_mov_b64 s[8:9], 0
	s_and_saveexec_b64 s[10:11], vcc
	s_xor_b64 s[10:11], exec, s[10:11]
	s_cbranch_execnz .LBB2_49
; %bb.47:                               ;   in Loop: Header=BB2_46 Depth=1
	s_or_saveexec_b64 s[10:11], s[10:11]
	v_mov_b32_e32 v32, 0x50
	s_xor_b64 exec, exec, s[10:11]
	s_cbranch_execnz .LBB2_50
.LBB2_48:                               ;   in Loop: Header=BB2_46 Depth=1
	s_or_b64 exec, exec, s[10:11]
	s_and_saveexec_b64 s[10:11], s[8:9]
	s_cbranch_execz .LBB2_45
	s_branch .LBB2_51
.LBB2_49:                               ;   in Loop: Header=BB2_46 Depth=1
	buffer_load_dword v31, off, s[0:3], 0 offset:80
	s_waitcnt vmcnt(0)
	v_cmp_eq_u32_e32 vcc, -1, v31
	s_and_b64 s[8:9], vcc, exec
                                        ; implicit-def: $vgpr31
	s_or_saveexec_b64 s[10:11], s[10:11]
	v_mov_b32_e32 v32, 0x50
	s_xor_b64 exec, exec, s[10:11]
	s_cbranch_execz .LBB2_48
.LBB2_50:                               ;   in Loop: Header=BB2_46 Depth=1
	buffer_load_dword v33, off, s[0:3], 0 offset:84
	v_mov_b32_e32 v32, 0x54
	s_or_b64 s[8:9], s[8:9], exec
	s_waitcnt vmcnt(0)
	buffer_store_dword v33, v31, s[0:3], 0 offen offset:40
	s_or_b64 exec, exec, s[10:11]
	s_and_saveexec_b64 s[10:11], s[8:9]
	s_cbranch_execz .LBB2_45
.LBB2_51:                               ;   in Loop: Header=BB2_46 Depth=1
	buffer_store_dword v27, v32, s[0:3], 0 offen
	s_branch .LBB2_45
.LBB2_52:
	s_or_b64 exec, exec, s[22:23]
	s_and_saveexec_b64 s[8:9], s[6:7]
	s_cbranch_execz .LBB2_54
; %bb.53:
	v_cmp_gt_f64_e32 vcc, 0, v[22:23]
	v_mov_b32_e32 v22, 0
	v_lshl_add_u32 v23, v29, 2, v22
	v_lshl_add_u32 v25, v24, 2, v22
	;; [unrolled: 1-line block ×3, first 2 shown]
	buffer_store_dword v24, v22, s[0:3], 0 offen offset:40
	s_and_b64 s[4:5], s[4:5], vcc
	s_or_b64 s[4:5], s[96:97], s[4:5]
	v_cndmask_b32_e64 v22, v28, -1, s[4:5]
	buffer_store_dword v29, v25, s[0:3], 0 offen offset:40
	buffer_store_dword v22, v23, s[0:3], 0 offen offset:40
.LBB2_54:
	s_or_b64 exec, exec, s[8:9]
	buffer_load_dword v28, off, s[0:3], 0 offset:80
	v_mov_b32_e32 v22, 0
	v_mov_b32_e32 v23, 0
	s_waitcnt vmcnt(0)
	v_cmp_lt_i32_e64 s[4:5], -1, v28
	s_and_saveexec_b64 s[20:21], s[4:5]
	s_cbranch_execz .LBB2_56
; %bb.55:
	v_cmp_eq_u32_e32 vcc, 1, v28
	v_cndmask_b32_e32 v22, v91, v89, vcc
	v_cmp_eq_u32_e64 s[6:7], 2, v28
	v_cndmask_b32_e64 v22, v22, v87, s[6:7]
	v_cmp_eq_u32_e64 s[8:9], 3, v28
	v_cndmask_b32_e64 v22, v22, v19, s[8:9]
	;; [unrolled: 2-line block ×7, first 2 shown]
	v_cndmask_b32_e32 v22, v90, v88, vcc
	v_cndmask_b32_e64 v22, v22, v86, s[6:7]
	v_cndmask_b32_e64 v22, v22, v18, s[8:9]
	;; [unrolled: 1-line block ×7, first 2 shown]
.LBB2_56:
	s_or_b64 exec, exec, s[20:21]
	v_mov_b32_e32 v25, v23
	v_mov_b32_e32 v29, -1
	v_mov_b32_e32 v38, -1
	;; [unrolled: 1-line block ×3, first 2 shown]
	v_mov_b32_e32 v24, v22
	v_mov_b32_e32 v30, -1
	s_and_saveexec_b64 s[14:15], s[4:5]
	s_cbranch_execz .LBB2_60
; %bb.57:
	v_mov_b32_e32 v27, v23
	v_mov_b32_e32 v29, -1
	s_mov_b64 s[16:17], 0
	v_mov_b32_e32 v31, 0
	v_mov_b32_e32 v33, v28
	v_mov_b32_e32 v38, -1
	v_mov_b32_e32 v32, -1
	;; [unrolled: 1-line block ×3, first 2 shown]
	v_mov_b32_e32 v26, v22
.LBB2_58:                               ; =>This Inner Loop Header: Depth=1
	v_lshl_add_u32 v24, v33, 2, v31
	buffer_load_dword v34, v24, s[0:3], 0 offen offset:40
	v_mov_b32_e32 v24, v26
	v_mov_b32_e32 v25, v27
	v_cmp_le_f64_e32 vcc, 0, v[24:25]
	s_waitcnt vmcnt(0)
	v_cmp_gt_i32_e64 s[6:7], 0, v34
	v_cndmask_b32_e64 v35, v34, v28, s[6:7]
	v_cmp_eq_u32_e64 s[8:9], 1, v35
	v_cndmask_b32_e64 v26, v91, v89, s[8:9]
	v_cmp_eq_u32_e64 s[10:11], 2, v35
	v_cndmask_b32_e64 v26, v26, v87, s[10:11]
	v_cndmask_b32_e64 v27, v90, v88, s[8:9]
	v_cmp_eq_u32_e64 s[8:9], 3, v35
	v_cndmask_b32_e64 v26, v26, v19, s[8:9]
	;; [unrolled: 3-line block ×7, first 2 shown]
	v_cndmask_b32_e64 v26, v36, v122, s[8:9]
	v_cndmask_b32_e64 v26, v26, v121, s[10:11]
	v_cmp_gt_f64_e64 s[8:9], 0, v[26:27]
	v_cmp_gt_f64_e64 s[10:11], 0, v[24:25]
	v_cmp_le_f64_e64 s[12:13], 0, v[26:27]
	s_and_b64 vcc, vcc, s[8:9]
	v_cndmask_b32_e32 v32, v32, v35, vcc
	s_and_b64 s[8:9], s[10:11], s[12:13]
	v_cndmask_b32_e64 v30, v30, v35, s[8:9]
	v_cndmask_b32_e32 v29, v29, v33, vcc
	v_cndmask_b32_e64 v38, v38, v33, s[8:9]
	s_or_b64 s[16:17], s[6:7], s[16:17]
	v_mov_b32_e32 v33, v34
	s_andn2_b64 exec, exec, s[16:17]
	s_cbranch_execnz .LBB2_58
; %bb.59:
	s_or_b64 exec, exec, s[16:17]
.LBB2_60:
	s_or_b64 exec, exec, s[14:15]
	v_mov_b32_e32 v27, -1
	v_cmp_lt_i32_e64 s[6:7], -1, v29
	v_mov_b32_e32 v26, -1
	v_mov_b32_e32 v31, -1
	s_and_saveexec_b64 s[96:97], s[6:7]
	s_cbranch_execz .LBB2_62
; %bb.61:
	v_cmp_eq_u32_e64 s[8:9], 1, v32
	v_cndmask_b32_e64 v26, v91, v89, s[8:9]
	v_cmp_eq_u32_e64 s[10:11], 2, v32
	v_cndmask_b32_e64 v26, v26, v87, s[10:11]
	;; [unrolled: 2-line block ×8, first 2 shown]
	v_cndmask_b32_e64 v26, v90, v88, s[8:9]
	v_cndmask_b32_e64 v26, v26, v86, s[10:11]
	;; [unrolled: 1-line block ×7, first 2 shown]
	v_cmp_eq_u32_e64 s[54:55], 1, v29
	v_cndmask_b32_e64 v31, v26, v121, s[22:23]
	v_cndmask_b32_e64 v26, v91, v89, s[54:55]
	v_cmp_eq_u32_e64 s[58:59], 2, v29
	v_cndmask_b32_e64 v26, v26, v87, s[58:59]
	v_cmp_eq_u32_e64 s[24:25], 3, v29
	;; [unrolled: 2-line block ×7, first 2 shown]
	v_cndmask_b32_e64 v36, v26, v118, s[36:37]
	v_cndmask_b32_e64 v26, v90, v88, s[54:55]
	;; [unrolled: 1-line block ×9, first 2 shown]
	v_add_f64 v[33:34], -v[31:32], 0
	v_add_f64 v[39:40], v[35:36], -v[31:32]
	buffer_load_dword v26, off, s[0:3], 0 offset:84
	v_cndmask_b32_e64 v37, v1, v3, s[54:55]
	v_cndmask_b32_e64 v107, v1, v3, s[8:9]
	;; [unrolled: 1-line block ×6, first 2 shown]
	v_div_scale_f64 v[41:42], s[38:39], v[39:40], v[39:40], v[33:34]
	v_cndmask_b32_e64 v37, v37, v7, s[24:25]
	v_cndmask_b32_e64 v37, v37, v9, s[26:27]
	v_cmp_eq_u32_e64 s[38:39], 1, v38
	v_cmp_eq_u32_e64 s[40:41], 2, v38
	;; [unrolled: 1-line block ×12, first 2 shown]
	v_rcp_f64_e32 v[43:44], v[41:42]
	v_mov_b32_e32 v106, 0
	v_cmp_eq_u32_e64 s[64:65], 5, v30
	v_cmp_eq_u32_e64 s[66:67], 6, v30
	;; [unrolled: 1-line block ×4, first 2 shown]
	v_cndmask_b32_e64 v108, v84, v80, s[54:55]
	v_fma_f64 v[45:46], -v[41:42], v[43:44], 1.0
	v_fma_f64 v[43:44], v[43:44], v[45:46], v[43:44]
	v_div_scale_f64 v[45:46], vcc, v[33:34], v[39:40], v[33:34]
	v_fma_f64 v[47:48], -v[41:42], v[43:44], 1.0
	v_fma_f64 v[43:44], v[43:44], v[47:48], v[43:44]
	v_mul_f64 v[47:48], v[45:46], v[43:44]
	v_fma_f64 v[41:42], -v[41:42], v[47:48], v[45:46]
	v_cndmask_b32_e64 v45, v0, v2, s[8:9]
	v_cndmask_b32_e64 v46, v85, v81, s[54:55]
	s_waitcnt vmcnt(0)
	v_cmp_eq_u32_e64 s[80:81], 1, v26
	v_cmp_eq_u32_e64 s[82:83], 0, v26
	;; [unrolled: 1-line block ×5, first 2 shown]
	v_div_fmas_f64 v[41:42], v[41:42], v[43:44], v[47:48]
	v_cndmask_b32_e64 v43, v107, v5, s[10:11]
	v_cndmask_b32_e64 v44, v45, v4, s[10:11]
	;; [unrolled: 1-line block ×15, first 2 shown]
	v_div_fixup_f64 v[39:40], v[41:42], v[39:40], v[33:34]
	v_cndmask_b32_e64 v33, v46, v95, s[14:15]
	v_cndmask_b32_e64 v34, v37, v11, s[28:29]
	v_cndmask_b32_e64 v37, v47, v10, s[28:29]
	v_cndmask_b32_e64 v47, v33, v110, s[16:17]
	v_cndmask_b32_e64 v46, v34, v13, s[30:31]
	v_cndmask_b32_e64 v33, v43, v13, s[18:19]
	v_cndmask_b32_e64 v34, v44, v12, s[18:19]
	v_add_f64 v[41:42], -v[39:40], 1.0
	v_cndmask_b32_e64 v45, v45, v110, s[28:29]
	v_cndmask_b32_e64 v33, v33, v15, s[20:21]
	;; [unrolled: 1-line block ×7, first 2 shown]
	v_mul_f64 v[45:46], v[31:32], v[41:42]
	v_mul_f64 v[33:34], v[33:34], v[41:42]
	v_cndmask_b32_e64 v37, v37, v12, s[30:31]
	v_cndmask_b32_e64 v37, v37, v14, s[34:35]
	v_cndmask_b32_e64 v44, v43, v17, s[36:37]
	v_cndmask_b32_e64 v43, v37, v16, s[36:37]
	v_cmp_eq_u32_e64 s[90:91], 5, v26
	v_cmp_eq_u32_e64 s[88:89], 6, v26
	v_fma_f64 v[45:46], v[35:36], v[39:40], v[45:46]
	v_fma_f64 v[43:44], v[43:44], v[39:40], v[33:34]
	v_cmp_eq_u32_e64 s[86:87], 7, v26
	v_cmp_eq_u32_e64 s[84:85], 8, v26
	v_cndmask_b32_e64 v31, v48, v112, s[34:35]
	v_cndmask_b32_e64 v107, v47, v113, s[18:19]
	;; [unrolled: 1-line block ×3, first 2 shown]
	v_lshl_add_u32 v31, v26, 2, v106
	v_cndmask_b32_e64 v36, v89, v46, s[80:81]
	v_cndmask_b32_e64 v35, v91, v46, s[82:83]
	;; [unrolled: 1-line block ×40, first 2 shown]
	buffer_load_dword v31, v31, s[0:3], 0 offen offset:40
	v_cndmask_b32_e64 v0, v0, v123, s[66:67]
	v_cndmask_b32_e64 v0, v0, v90, s[68:69]
	;; [unrolled: 1-line block ×15, first 2 shown]
	v_add_f64 v[12:13], -v[19:20], 0
	v_add_f64 v[14:15], v[48:49], -v[19:20]
	v_cndmask_b32_e64 v137, v8, v43, s[74:75]
	v_cndmask_b32_e64 v45, v9, v44, s[74:75]
	;; [unrolled: 1-line block ×7, first 2 shown]
	v_div_scale_f64 v[86:87], s[98:99], v[14:15], v[14:15], v[12:13]
	v_cndmask_b32_e64 v0, v0, v92, s[12:13]
	v_cndmask_b32_e64 v0, v0, v94, s[14:15]
	;; [unrolled: 1-line block ×12, first 2 shown]
	v_mul_f64 v[16:17], v[16:17], v[41:42]
	v_cndmask_b32_e64 v0, v0, v114, s[34:35]
	v_rcp_f64_e32 v[8:9], v[86:87]
	v_cndmask_b32_e64 v46, v0, v115, s[36:37]
	v_cndmask_b32_e64 v91, v1, v44, s[82:83]
	;; [unrolled: 1-line block ×5, first 2 shown]
	v_fma_f64 v[16:17], v[46:47], v[39:40], v[16:17]
	v_cndmask_b32_e64 v139, v4, v43, s[78:79]
	v_cndmask_b32_e64 v46, v7, v44, s[76:77]
	v_cndmask_b32_e64 v47, v5, v44, s[78:79]
	v_div_scale_f64 v[5:6], vcc, v[12:13], v[14:15], v[12:13]
	v_cndmask_b32_e64 v11, v11, v44, s[90:91]
	v_cndmask_b32_e64 v136, v10, v43, s[90:91]
	;; [unrolled: 1-line block ×4, first 2 shown]
	v_fma_f64 v[0:1], -v[86:87], v[8:9], 1.0
	v_cndmask_b32_e64 v116, v116, v16, s[88:89]
	v_cndmask_b32_e64 v117, v117, v16, s[90:91]
	;; [unrolled: 1-line block ×7, first 2 shown]
	v_fma_f64 v[0:1], v[8:9], v[0:1], v[8:9]
	v_cndmask_b32_e64 v16, v3, v96, s[58:59]
	v_cndmask_b32_e64 v3, v101, v99, s[8:9]
	;; [unrolled: 1-line block ×7, first 2 shown]
	v_fma_f64 v[3:4], -v[86:87], v[0:1], 1.0
	v_cndmask_b32_e64 v7, v7, v127, s[20:21]
	v_cndmask_b32_e64 v8, v7, v126, s[22:23]
	;; [unrolled: 1-line block ×6, first 2 shown]
	s_waitcnt vmcnt(0)
	v_lshl_add_u32 v7, v31, 2, v106
	v_fma_f64 v[3:4], v[0:1], v[3:4], v[0:1]
	buffer_load_dword v44, v7, s[0:3], 0 offen offset:40
	v_cndmask_b32_e64 v0, v100, v98, s[8:9]
	v_cndmask_b32_e64 v0, v0, v96, s[10:11]
	;; [unrolled: 1-line block ×6, first 2 shown]
	v_mul_f64 v[9:10], v[5:6], v[3:4]
	v_cndmask_b32_e64 v0, v0, v131, s[20:21]
	v_cndmask_b32_e64 v7, v0, v130, s[22:23]
	v_mul_f64 v[7:8], v[7:8], v[41:42]
	v_cndmask_b32_e64 v0, v16, v102, s[24:25]
	v_cndmask_b32_e64 v2, v2, v105, s[26:27]
	;; [unrolled: 1-line block ×4, first 2 shown]
	v_fma_f64 v[5:6], -v[86:87], v[9:10], v[5:6]
	v_cndmask_b32_e64 v0, v0, v133, s[28:29]
	v_cndmask_b32_e64 v2, v2, v128, s[30:31]
	;; [unrolled: 1-line block ×7, first 2 shown]
	v_fma_f64 v[0:1], v[1:2], v[39:40], v[7:8]
	v_div_fmas_f64 v[2:3], v[5:6], v[3:4], v[9:10]
	v_cndmask_b32_e64 v81, v81, v17, s[80:81]
	v_cndmask_b32_e64 v85, v85, v17, s[82:83]
	v_cndmask_b32_e64 v83, v83, v17, s[78:79]
	v_cndmask_b32_e64 v87, v93, v17, s[76:77]
	v_cndmask_b32_e64 v86, v95, v17, s[74:75]
	v_cndmask_b32_e64 v110, v110, v17, s[90:91]
	v_cndmask_b32_e64 v106, v130, v0, s[84:85]
	v_cndmask_b32_e64 v131, v131, v0, s[86:87]
	v_cndmask_b32_e64 v132, v132, v0, s[88:89]
	v_cndmask_b32_e64 v133, v133, v0, s[90:91]
	v_cndmask_b32_e64 v104, v104, v0, s[74:75]
	v_cndmask_b32_e64 v102, v102, v0, s[76:77]
	v_cndmask_b32_e64 v96, v96, v0, s[78:79]
	v_cndmask_b32_e64 v98, v98, v0, s[80:81]
	v_cndmask_b32_e64 v100, v100, v0, s[82:83]
	v_div_fixup_f64 v[38:39], v[2:3], v[14:15], v[12:13]
	v_cndmask_b32_e64 v2, v91, v89, s[38:39]
	v_cndmask_b32_e64 v2, v2, v47, s[40:41]
	;; [unrolled: 1-line block ×9, first 2 shown]
	v_add_f64 v[40:41], -v[38:39], 1.0
	v_cndmask_b32_e64 v0, v91, v89, s[72:73]
	v_cndmask_b32_e64 v2, v2, v139, s[40:41]
	v_cndmask_b32_e64 v0, v0, v47, s[56:57]
	v_cndmask_b32_e64 v2, v2, v138, s[42:43]
	v_cndmask_b32_e64 v0, v0, v46, s[60:61]
	v_cndmask_b32_e64 v2, v2, v137, s[44:45]
	v_cndmask_b32_e64 v0, v0, v45, s[62:63]
	v_cndmask_b32_e64 v2, v2, v136, s[46:47]
	v_cndmask_b32_e64 v0, v0, v11, s[64:65]
	v_cndmask_b32_e64 v2, v2, v135, s[48:49]
	v_cndmask_b32_e64 v0, v0, v144, s[66:67]
	v_cndmask_b32_e64 v2, v2, v134, s[50:51]
	v_cndmask_b32_e64 v0, v0, v143, s[68:69]
	v_cndmask_b32_e64 v4, v2, v109, s[52:53]
	v_cndmask_b32_e64 v3, v0, v142, s[70:71]
	v_cndmask_b32_e64 v0, v141, v140, s[72:73]
	v_mul_f64 v[4:5], v[4:5], v[40:41]
	v_cndmask_b32_e64 v0, v0, v139, s[56:57]
	v_cndmask_b32_e64 v0, v0, v138, s[60:61]
	;; [unrolled: 1-line block ×7, first 2 shown]
	v_fma_f64 v[42:43], v[2:3], v[38:39], v[4:5]
	v_cndmask_b32_e64 v2, v85, v81, s[38:39]
	v_cndmask_b32_e64 v2, v2, v83, s[40:41]
	;; [unrolled: 1-line block ×37, first 2 shown]
	v_mul_f64 v[2:3], v[2:3], v[40:41]
	v_cndmask_b32_e64 v0, v0, v82, s[56:57]
	v_cndmask_b32_e64 v0, v0, v92, s[60:61]
	;; [unrolled: 1-line block ×6, first 2 shown]
	v_cmp_eq_u32_e64 s[14:15], 4, v31
	v_cmp_eq_u32_e64 s[16:17], 3, v31
	v_cndmask_b32_e64 v0, v0, v107, s[70:71]
	s_waitcnt vmcnt(0)
	buffer_store_dword v44, off, s[0:3], 0 offset:84
	v_cndmask_b32_e64 v9, v45, v43, s[14:15]
	v_cndmask_b32_e64 v7, v46, v43, s[16:17]
	v_fma_f64 v[44:45], v[38:39], v[0:1], v[2:3]
	v_cndmask_b32_e64 v46, v101, v99, s[38:39]
	v_cndmask_b32_e64 v46, v46, v97, s[40:41]
	;; [unrolled: 1-line block ×6, first 2 shown]
	v_cmp_eq_u32_e64 s[18:19], 2, v31
	v_cndmask_b32_e64 v46, v46, v127, s[50:51]
	v_cmp_eq_u32_e32 vcc, 8, v31
	v_cmp_eq_u32_e64 s[8:9], 7, v31
	v_cmp_eq_u32_e64 s[10:11], 6, v31
	;; [unrolled: 1-line block ×3, first 2 shown]
	v_cndmask_b32_e64 v5, v47, v43, s[18:19]
	v_cmp_eq_u32_e64 s[20:21], 1, v31
	v_cmp_eq_u32_e64 s[22:23], 0, v31
	v_cndmask_b32_e64 v47, v46, v126, s[52:53]
	v_cndmask_b32_e64 v46, v100, v98, s[38:39]
	v_cndmask_b32_e32 v115, v107, v44, vcc
	v_cndmask_b32_e64 v114, v108, v44, s[8:9]
	v_cndmask_b32_e64 v116, v116, v44, s[10:11]
	;; [unrolled: 1-line block ×22, first 2 shown]
	v_cndmask_b32_e32 v111, v111, v45, vcc
	v_cndmask_b32_e64 v112, v112, v45, s[8:9]
	v_mul_f64 v[19:20], v[19:20], v[40:41]
	v_cndmask_b32_e64 v113, v113, v45, s[10:11]
	v_cndmask_b32_e64 v110, v110, v45, s[12:13]
	;; [unrolled: 1-line block ×9, first 2 shown]
	v_mul_f64 v[40:41], v[46:47], v[40:41]
	v_cndmask_b32_e64 v44, v44, v96, s[56:57]
	v_cndmask_b32_e64 v44, v44, v102, s[60:61]
	v_cndmask_b32_e64 v44, v44, v104, s[62:63]
	v_cndmask_b32_e64 v44, v44, v133, s[64:65]
	v_cndmask_b32_e64 v44, v44, v132, s[66:67]
	v_cndmask_b32_e64 v44, v44, v131, s[68:69]
	v_cndmask_b32_e64 v44, v44, v106, s[70:71]
	v_cndmask_b32_e32 v17, v142, v43, vcc
	v_cndmask_b32_e32 v16, v109, v42, vcc
	v_cndmask_b32_e64 v15, v143, v43, s[8:9]
	v_cndmask_b32_e64 v14, v134, v42, s[8:9]
	;; [unrolled: 1-line block ×13, first 2 shown]
	v_fma_f64 v[42:43], v[48:49], v[38:39], v[19:20]
	v_fma_f64 v[38:39], v[38:39], v[44:45], v[40:41]
	v_cndmask_b32_e32 v118, v88, v43, vcc
	v_cndmask_b32_e32 v121, v121, v42, vcc
	v_cndmask_b32_e64 v119, v90, v43, s[8:9]
	v_cndmask_b32_e64 v122, v122, v42, s[8:9]
	;; [unrolled: 1-line block ×16, first 2 shown]
	v_cndmask_b32_e32 v126, v126, v39, vcc
	v_cndmask_b32_e32 v130, v106, v38, vcc
	v_cndmask_b32_e64 v127, v127, v39, s[8:9]
	v_cndmask_b32_e64 v131, v131, v38, s[8:9]
	;; [unrolled: 1-line block ×16, first 2 shown]
.LBB2_62:
	s_or_b64 exec, exec, s[96:97]
	buffer_store_dword v27, off, s[0:3], 0 offset:80
	s_and_saveexec_b64 s[20:21], s[4:5]
	s_cbranch_execz .LBB2_71
; %bb.63:
	s_mov_b64 s[22:23], 0
	v_mov_b32_e32 v27, 0
	s_branch .LBB2_65
.LBB2_64:                               ;   in Loop: Header=BB2_65 Depth=1
	s_or_b64 exec, exec, s[8:9]
	s_waitcnt vmcnt(0)
	v_cmp_gt_i32_e32 vcc, 0, v32
	s_or_b64 s[22:23], vcc, s[22:23]
	v_mov_b32_e32 v28, v32
	s_andn2_b64 exec, exec, s[22:23]
	s_cbranch_execz .LBB2_71
.LBB2_65:                               ; =>This Inner Loop Header: Depth=1
	v_lshl_add_u32 v33, v28, 2, v27
	buffer_load_dword v32, v33, s[0:3], 0 offen offset:40
	v_cmp_eq_u32_e32 vcc, 1, v28
	v_cndmask_b32_e32 v34, v91, v89, vcc
	v_cmp_eq_u32_e64 s[4:5], 2, v28
	v_cndmask_b32_e64 v34, v34, v87, s[4:5]
	v_cmp_eq_u32_e64 s[8:9], 3, v28
	v_cndmask_b32_e64 v34, v34, v19, s[8:9]
	;; [unrolled: 2-line block ×7, first 2 shown]
	v_cndmask_b32_e32 v34, v90, v88, vcc
	v_cndmask_b32_e64 v34, v34, v86, s[4:5]
	v_cndmask_b32_e64 v34, v34, v18, s[8:9]
	;; [unrolled: 1-line block ×7, first 2 shown]
	v_cmp_ngt_f64_e32 vcc, 0, v[34:35]
	s_mov_b64 s[4:5], 0
	s_and_saveexec_b64 s[8:9], vcc
	s_xor_b64 s[8:9], exec, s[8:9]
	s_cbranch_execnz .LBB2_68
; %bb.66:                               ;   in Loop: Header=BB2_65 Depth=1
	s_or_saveexec_b64 s[8:9], s[8:9]
	v_mov_b32_e32 v34, 0x50
	s_xor_b64 exec, exec, s[8:9]
	s_cbranch_execnz .LBB2_69
.LBB2_67:                               ;   in Loop: Header=BB2_65 Depth=1
	s_or_b64 exec, exec, s[8:9]
	s_and_saveexec_b64 s[8:9], s[4:5]
	s_cbranch_execz .LBB2_64
	s_branch .LBB2_70
.LBB2_68:                               ;   in Loop: Header=BB2_65 Depth=1
	buffer_load_dword v33, off, s[0:3], 0 offset:80
	s_waitcnt vmcnt(0)
	v_cmp_eq_u32_e32 vcc, -1, v33
	s_and_b64 s[4:5], vcc, exec
                                        ; implicit-def: $vgpr33
	s_or_saveexec_b64 s[8:9], s[8:9]
	v_mov_b32_e32 v34, 0x50
	s_xor_b64 exec, exec, s[8:9]
	s_cbranch_execz .LBB2_67
.LBB2_69:                               ;   in Loop: Header=BB2_65 Depth=1
	buffer_load_dword v35, off, s[0:3], 0 offset:84
	v_mov_b32_e32 v34, 0x54
	s_or_b64 s[4:5], s[4:5], exec
	s_waitcnt vmcnt(0)
	buffer_store_dword v35, v33, s[0:3], 0 offen offset:40
	s_or_b64 exec, exec, s[8:9]
	s_and_saveexec_b64 s[8:9], s[4:5]
	s_cbranch_execz .LBB2_64
.LBB2_70:                               ;   in Loop: Header=BB2_65 Depth=1
	buffer_store_dword v28, v34, s[0:3], 0 offen
	s_branch .LBB2_64
.LBB2_71:
	s_or_b64 exec, exec, s[20:21]
	s_and_saveexec_b64 s[4:5], s[6:7]
	s_cbranch_execz .LBB2_73
; %bb.72:
	v_max_f64 v[22:23], v[22:23], v[22:23]
	v_max_f64 v[24:25], v[24:25], v[24:25]
	v_min_f64 v[22:23], v[24:25], v[22:23]
	v_mov_b32_e32 v24, 0
	v_lshl_add_u32 v25, v31, 2, v24
	v_lshl_add_u32 v27, v26, 2, v24
	;; [unrolled: 1-line block ×3, first 2 shown]
	buffer_store_dword v26, v24, s[0:3], 0 offen offset:40
	v_cmp_ngt_f64_e32 vcc, 0, v[22:23]
	v_cndmask_b32_e32 v22, -1, v30, vcc
	buffer_store_dword v31, v27, s[0:3], 0 offen offset:40
	buffer_store_dword v22, v25, s[0:3], 0 offen offset:40
.LBB2_73:
	s_or_b64 exec, exec, s[4:5]
	buffer_load_dword v134, off, s[0:3], 0 offset:80
	buffer_load_dword v135, off, s[0:3], 0 offset:84
	buffer_load_dword v22, off, s[0:3], 0 offset:40
	buffer_load_dword v23, off, s[0:3], 0 offset:44
	buffer_load_dword v24, off, s[0:3], 0 offset:48
	buffer_load_dword v25, off, s[0:3], 0 offset:52
	buffer_load_dword v27, off, s[0:3], 0 offset:56
	buffer_load_dword v30, off, s[0:3], 0 offset:60
	buffer_load_dword v31, off, s[0:3], 0 offset:64
	buffer_load_dword v32, off, s[0:3], 0 offset:68
	buffer_load_dword v33, off, s[0:3], 0 offset:72
	v_mov_b32_e32 v26, -1
	s_mov_b64 s[96:97], 0
	v_mov_b32_e32 v28, -1
	v_mov_b32_e32 v29, -1
	s_waitcnt vmcnt(10)
	buffer_store_dword v134, off, s[0:3], 0 offset:88
	s_waitcnt vmcnt(10)
	buffer_store_dword v135, off, s[0:3], 0 offset:92
	s_waitcnt vmcnt(10)
	buffer_store_dword v22, off, s[0:3], 0
	s_waitcnt vmcnt(10)
	buffer_store_dword v23, off, s[0:3], 0 offset:4
	s_waitcnt vmcnt(10)
	buffer_store_dword v24, off, s[0:3], 0 offset:8
	;; [unrolled: 2-line block ×8, first 2 shown]
	v_cmp_eq_u32_e32 vcc, 1, v134
	v_cndmask_b32_e32 v22, v101, v99, vcc
	v_cmp_eq_u32_e64 s[6:7], 2, v134
	v_cndmask_b32_e64 v22, v22, v97, s[6:7]
	v_cndmask_b32_e32 v23, v100, v98, vcc
	v_cmp_eq_u32_e32 vcc, 3, v134
	v_cndmask_b32_e32 v22, v22, v103, vcc
	v_cndmask_b32_e64 v23, v23, v96, s[6:7]
	v_cmp_eq_u32_e64 s[6:7], 4, v134
	v_cndmask_b32_e64 v22, v22, v105, s[6:7]
	v_cndmask_b32_e32 v23, v23, v102, vcc
	v_cmp_eq_u32_e32 vcc, 5, v134
	v_cndmask_b32_e32 v22, v22, v129, vcc
	v_cndmask_b32_e64 v23, v23, v104, s[6:7]
	;; [unrolled: 6-line block ×3, first 2 shown]
	v_cmp_eq_u32_e64 s[6:7], 8, v134
	v_cndmask_b32_e64 v23, v22, v126, s[6:7]
	v_cndmask_b32_e32 v22, v24, v131, vcc
	v_cmp_lt_i32_e64 s[4:5], -1, v134
	v_cndmask_b32_e64 v22, v22, v130, s[6:7]
	v_mov_b32_e32 v27, -1
	s_and_saveexec_b64 s[14:15], s[4:5]
	s_cbranch_execz .LBB2_77
; %bb.74:
	v_mov_b32_e32 v25, v23
	v_mov_b32_e32 v26, -1
	s_mov_b64 s[16:17], 0
	v_mov_b32_e32 v30, 0
	v_mov_b32_e32 v31, v134
	v_mov_b32_e32 v28, -1
	v_mov_b32_e32 v29, -1
	;; [unrolled: 1-line block ×3, first 2 shown]
	v_mov_b32_e32 v24, v22
                                        ; implicit-def: $sgpr18_sgpr19
.LBB2_75:                               ; =>This Inner Loop Header: Depth=1
	v_lshl_add_u32 v32, v31, 2, v30
	buffer_load_dword v32, v32, s[0:3], 0 offen offset:40
	v_cmp_le_f64_e32 vcc, 0, v[24:25]
	v_cmp_gt_f64_e64 s[6:7], 0, v[24:25]
	s_waitcnt vmcnt(0)
	v_cmp_gt_i32_e64 s[8:9], 0, v32
	v_cndmask_b32_e64 v33, v32, v134, s[8:9]
	v_cmp_eq_u32_e64 s[10:11], 1, v33
	v_cndmask_b32_e64 v24, v101, v99, s[10:11]
	v_cmp_eq_u32_e64 s[12:13], 2, v33
	v_cndmask_b32_e64 v24, v24, v97, s[12:13]
	v_cndmask_b32_e64 v25, v100, v98, s[10:11]
	v_cmp_eq_u32_e64 s[10:11], 3, v33
	v_cndmask_b32_e64 v24, v24, v103, s[10:11]
	;; [unrolled: 3-line block ×7, first 2 shown]
	v_cndmask_b32_e64 v24, v34, v131, s[10:11]
	v_cndmask_b32_e64 v24, v24, v130, s[12:13]
	v_cmp_gt_f64_e64 s[10:11], 0, v[24:25]
	v_cmp_le_f64_e64 s[12:13], 0, v[24:25]
	s_and_b64 vcc, vcc, s[10:11]
	s_and_b64 s[10:11], s[6:7], s[12:13]
	s_or_b64 s[16:17], s[8:9], s[16:17]
	s_andn2_b64 s[8:9], s[18:19], exec
	s_and_b64 s[6:7], s[6:7], exec
	v_cndmask_b32_e32 v29, v29, v33, vcc
	v_cndmask_b32_e64 v27, v27, v33, s[10:11]
	v_cndmask_b32_e32 v26, v26, v31, vcc
	v_cndmask_b32_e64 v28, v28, v31, s[10:11]
	v_mov_b32_e32 v31, v32
	s_or_b64 s[18:19], s[8:9], s[6:7]
	s_andn2_b64 exec, exec, s[16:17]
	s_cbranch_execnz .LBB2_75
; %bb.76:
	s_or_b64 exec, exec, s[16:17]
	s_and_b64 s[96:97], s[18:19], exec
.LBB2_77:
	s_or_b64 exec, exec, s[14:15]
	v_mov_b32_e32 v24, -1
	v_cmp_lt_i32_e64 s[6:7], -1, v26
	v_mov_b32_e32 v30, -1
	v_mov_b32_e32 v25, -1
	s_and_saveexec_b64 s[98:99], s[6:7]
	s_cbranch_execz .LBB2_79
; %bb.78:
	v_cmp_eq_u32_e64 s[8:9], 1, v29
	v_cndmask_b32_e64 v25, v101, v99, s[8:9]
	v_cmp_eq_u32_e64 s[10:11], 2, v29
	v_cndmask_b32_e64 v25, v25, v97, s[10:11]
	;; [unrolled: 2-line block ×8, first 2 shown]
	v_cndmask_b32_e64 v25, v100, v98, s[8:9]
	v_cndmask_b32_e64 v25, v25, v96, s[10:11]
	;; [unrolled: 1-line block ×7, first 2 shown]
	v_cmp_eq_u32_e64 s[38:39], 1, v26
	v_cndmask_b32_e64 v29, v25, v130, s[22:23]
	v_cndmask_b32_e64 v25, v101, v99, s[38:39]
	v_cmp_eq_u32_e64 s[40:41], 2, v26
	v_cndmask_b32_e64 v25, v25, v97, s[40:41]
	v_cmp_eq_u32_e64 s[24:25], 3, v26
	;; [unrolled: 2-line block ×7, first 2 shown]
	v_cndmask_b32_e64 v34, v25, v126, s[36:37]
	v_cndmask_b32_e64 v25, v100, v98, s[38:39]
	;; [unrolled: 1-line block ×9, first 2 shown]
	v_add_f64 v[31:32], -v[29:30], 0
	v_add_f64 v[35:36], v[33:34], -v[29:30]
	v_cndmask_b32_e64 v48, v85, v81, s[38:39]
	v_cndmask_b32_e64 v46, v1, v3, s[38:39]
	;; [unrolled: 1-line block ×3, first 2 shown]
	v_cmp_eq_u32_e64 s[80:81], 1, v135
	v_cmp_eq_u32_e64 s[82:83], 0, v135
	v_cmp_eq_u32_e64 s[78:79], 2, v135
	v_cmp_eq_u32_e64 s[76:77], 3, v135
	v_div_scale_f64 v[37:38], s[42:43], v[35:36], v[35:36], v[31:32]
	v_cmp_eq_u32_e64 s[42:43], 1, v28
	v_cmp_eq_u32_e64 s[44:45], 2, v28
	v_cmp_eq_u32_e64 s[74:75], 4, v135
	v_cmp_eq_u32_e64 s[46:47], 3, v28
	v_cmp_eq_u32_e64 s[90:91], 5, v135
	v_cmp_eq_u32_e64 s[48:49], 4, v28
	v_cmp_eq_u32_e64 s[88:89], 6, v135
	v_cmp_eq_u32_e64 s[50:51], 5, v28
	v_cmp_eq_u32_e64 s[86:87], 7, v135
	v_cmp_eq_u32_e64 s[52:53], 6, v28
	v_cmp_eq_u32_e64 s[84:85], 8, v135
	v_cmp_eq_u32_e64 s[54:55], 7, v28
	v_cmp_eq_u32_e64 s[56:57], 8, v28
	v_cmp_eq_u32_e64 s[72:73], 1, v27
	v_rcp_f64_e32 v[39:40], v[37:38]
	v_cmp_eq_u32_e64 s[58:59], 2, v27
	v_cmp_eq_u32_e64 s[60:61], 3, v27
	v_cmp_eq_u32_e64 s[62:63], 4, v27
	v_cmp_eq_u32_e64 s[64:65], 5, v27
	v_cmp_eq_u32_e64 s[66:67], 6, v27
	v_cmp_eq_u32_e64 s[68:69], 7, v27
	v_cmp_eq_u32_e64 s[70:71], 8, v27
	v_mov_b32_e32 v45, 0
	v_lshl_add_u32 v25, v135, 2, v45
	v_cndmask_b32_e64 v106, v85, v81, s[8:9]
	buffer_load_dword v25, v25, s[0:3], 0 offen offset:40
	v_cndmask_b32_e64 v49, v84, v80, s[38:39]
	v_fma_f64 v[41:42], -v[37:38], v[39:40], 1.0
	v_fma_f64 v[39:40], v[39:40], v[41:42], v[39:40]
	v_div_scale_f64 v[41:42], vcc, v[31:32], v[35:36], v[31:32]
	v_fma_f64 v[43:44], -v[37:38], v[39:40], 1.0
	v_fma_f64 v[39:40], v[39:40], v[43:44], v[39:40]
	v_mul_f64 v[43:44], v[41:42], v[39:40]
	v_fma_f64 v[37:38], -v[37:38], v[43:44], v[41:42]
	v_cndmask_b32_e64 v41, v1, v3, s[8:9]
	v_cndmask_b32_e64 v42, v0, v2, s[8:9]
	v_cndmask_b32_e64 v41, v41, v5, s[10:11]
	v_cndmask_b32_e64 v42, v42, v4, s[10:11]
	v_cndmask_b32_e64 v41, v41, v7, s[12:13]
	v_cndmask_b32_e64 v42, v42, v6, s[12:13]
	v_cndmask_b32_e64 v41, v41, v9, s[14:15]
	v_div_fmas_f64 v[37:38], v[37:38], v[39:40], v[43:44]
	v_cndmask_b32_e64 v43, v48, v83, s[40:41]
	v_cndmask_b32_e64 v43, v43, v93, s[24:25]
	;; [unrolled: 1-line block ×15, first 2 shown]
	v_div_fixup_f64 v[31:32], v[37:38], v[35:36], v[31:32]
	v_cndmask_b32_e64 v35, v42, v8, s[14:15]
	v_cndmask_b32_e64 v38, v41, v11, s[16:17]
	;; [unrolled: 1-line block ×7, first 2 shown]
	v_add_f64 v[35:36], -v[31:32], 1.0
	v_cndmask_b32_e64 v37, v37, v15, s[20:21]
	v_cndmask_b32_e64 v41, v38, v14, s[20:21]
	;; [unrolled: 1-line block ×7, first 2 shown]
	v_mul_f64 v[29:30], v[29:30], v[35:36]
	v_mul_f64 v[37:38], v[37:38], v[35:36]
	v_cndmask_b32_e64 v42, v44, v95, s[14:15]
	v_fma_f64 v[29:30], v[33:34], v[31:32], v[29:30]
	v_fma_f64 v[37:38], v[39:40], v[31:32], v[37:38]
	v_cndmask_b32_e64 v39, v42, v110, s[16:17]
	v_cndmask_b32_e64 v39, v39, v113, s[18:19]
	;; [unrolled: 1-line block ×60, first 2 shown]
	v_add_f64 v[12:13], -v[28:29], 0
	v_add_f64 v[14:15], v[33:34], -v[28:29]
	v_cndmask_b32_e64 v0, v39, v112, s[20:21]
	v_cndmask_b32_e64 v136, v17, v38, s[84:85]
	;; [unrolled: 1-line block ×7, first 2 shown]
	v_div_scale_f64 v[41:42], vcc, v[14:15], v[14:15], v[12:13]
	v_cndmask_b32_e64 v0, v0, v117, s[16:17]
	v_cndmask_b32_e64 v0, v0, v116, s[18:19]
	v_cndmask_b32_e64 v0, v0, v114, s[20:21]
	v_cndmask_b32_e64 v43, v16, v37, s[84:85]
	v_cndmask_b32_e64 v16, v0, v115, s[22:23]
	v_mul_f64 v[16:17], v[16:17], v[35:36]
	v_cndmask_b32_e64 v0, v49, v82, s[40:41]
	v_cndmask_b32_e64 v0, v0, v92, s[24:25]
	;; [unrolled: 1-line block ×8, first 2 shown]
	v_fma_f64 v[16:17], v[39:40], v[31:32], v[16:17]
	v_cndmask_b32_e64 v39, v9, v38, s[74:75]
	v_rcp_f64_e32 v[8:9], v[41:42]
	v_cndmask_b32_e64 v140, v1, v38, s[82:83]
	v_cndmask_b32_e64 v139, v3, v38, s[80:81]
	;; [unrolled: 1-line block ×15, first 2 shown]
	v_fma_f64 v[0:1], -v[41:42], v[8:9], 1.0
	v_cndmask_b32_e64 v3, v91, v89, s[8:9]
	v_cndmask_b32_e64 v40, v7, v38, s[76:77]
	;; [unrolled: 1-line block ×4, first 2 shown]
	v_div_scale_f64 v[5:6], vcc, v[12:13], v[14:15], v[12:13]
	v_cndmask_b32_e64 v47, v10, v37, s[90:91]
	v_fma_f64 v[0:1], v[8:9], v[0:1], v[8:9]
	v_cndmask_b32_e64 v7, v7, v19, s[12:13]
	v_cndmask_b32_e64 v7, v7, v21, s[14:15]
	v_cndmask_b32_e64 v7, v7, v120, s[16:17]
	v_cndmask_b32_e64 v7, v7, v123, s[18:19]
	v_cndmask_b32_e64 v7, v7, v119, s[20:21]
	v_cndmask_b32_e64 v8, v7, v118, s[22:23]
	s_waitcnt vmcnt(0)
	v_lshl_add_u32 v7, v25, 2, v45
	v_fma_f64 v[3:4], -v[41:42], v[0:1], 1.0
	buffer_load_dword v45, v7, s[0:3], 0 offen offset:40
	v_cndmask_b32_e64 v108, v2, v37, s[80:81]
	v_cndmask_b32_e64 v2, v91, v89, s[38:39]
	;; [unrolled: 1-line block ×6, first 2 shown]
	v_fma_f64 v[3:4], v[0:1], v[3:4], v[0:1]
	v_cndmask_b32_e64 v0, v90, v88, s[8:9]
	v_cndmask_b32_e64 v0, v0, v86, s[10:11]
	;; [unrolled: 1-line block ×7, first 2 shown]
	v_mul_f64 v[9:10], v[5:6], v[3:4]
	v_cndmask_b32_e64 v7, v0, v121, s[22:23]
	v_mul_f64 v[7:8], v[35:36], v[7:8]
	v_cndmask_b32_e64 v0, v16, v18, s[24:25]
	v_cndmask_b32_e64 v0, v0, v20, s[26:27]
	;; [unrolled: 1-line block ×5, first 2 shown]
	v_fma_f64 v[5:6], -v[41:42], v[9:10], v[5:6]
	v_cndmask_b32_e64 v2, v2, v119, s[34:35]
	v_cndmask_b32_e64 v0, v0, v122, s[34:35]
	;; [unrolled: 1-line block ×4, first 2 shown]
	v_fma_f64 v[0:1], v[31:32], v[1:2], v[7:8]
	v_cndmask_b32_e64 v11, v11, v38, s[90:91]
	v_cndmask_b32_e64 v81, v81, v17, s[80:81]
	v_div_fmas_f64 v[2:3], v[5:6], v[3:4], v[9:10]
	v_cndmask_b32_e64 v85, v85, v17, s[82:83]
	v_cndmask_b32_e64 v42, v83, v17, s[78:79]
	;; [unrolled: 1-line block ×15, first 2 shown]
	v_div_fixup_f64 v[30:31], v[2:3], v[14:15], v[12:13]
	v_cndmask_b32_e64 v2, v140, v139, s[42:43]
	v_cndmask_b32_e64 v2, v2, v49, s[44:45]
	;; [unrolled: 1-line block ×9, first 2 shown]
	v_add_f64 v[35:36], -v[30:31], 1.0
	v_cndmask_b32_e64 v2, v2, v107, s[44:45]
	v_cndmask_b32_e64 v2, v2, v106, s[46:47]
	;; [unrolled: 1-line block ×14, first 2 shown]
	v_mul_f64 v[4:5], v[4:5], v[35:36]
	v_cndmask_b32_e64 v0, v0, v107, s[58:59]
	v_cndmask_b32_e64 v0, v0, v106, s[60:61]
	;; [unrolled: 1-line block ×7, first 2 shown]
	v_fma_f64 v[37:38], v[2:3], v[30:31], v[4:5]
	v_cndmask_b32_e64 v2, v85, v81, s[42:43]
	v_cndmask_b32_e64 v2, v2, v42, s[44:45]
	;; [unrolled: 1-line block ×38, first 2 shown]
	v_mul_f64 v[2:3], v[2:3], v[35:36]
	v_cndmask_b32_e64 v0, v0, v82, s[58:59]
	v_cndmask_b32_e64 v0, v0, v92, s[60:61]
	;; [unrolled: 1-line block ×7, first 2 shown]
	v_fma_f64 v[18:19], v[0:1], v[30:31], v[2:3]
	v_cmp_eq_u32_e64 s[14:15], 4, v25
	v_cmp_eq_u32_e32 vcc, 8, v25
	v_cmp_eq_u32_e64 s[8:9], 7, v25
	v_cmp_eq_u32_e64 s[10:11], 6, v25
	;; [unrolled: 1-line block ×5, first 2 shown]
	v_cndmask_b32_e64 v95, v32, v19, s[14:15]
	v_cndmask_b32_e64 v32, v91, v89, s[42:43]
	;; [unrolled: 1-line block ×7, first 2 shown]
	v_cmp_eq_u32_e64 s[20:21], 1, v25
	v_cmp_eq_u32_e64 s[22:23], 0, v25
	v_cndmask_b32_e64 v32, v32, v119, s[54:55]
	v_cndmask_b32_e32 v17, v136, v38, vcc
	v_cndmask_b32_e64 v15, v137, v38, s[8:9]
	v_cndmask_b32_e64 v13, v138, v38, s[10:11]
	;; [unrolled: 1-line block ×22, first 2 shown]
	v_cndmask_b32_e32 v16, v43, v37, vcc
	v_cndmask_b32_e64 v14, v44, v37, s[8:9]
	v_cndmask_b32_e64 v12, v46, v37, s[10:11]
	;; [unrolled: 1-line block ×12, first 2 shown]
	v_mul_f64 v[37:38], v[35:36], v[37:38]
	v_mul_f64 v[28:29], v[28:29], v[35:36]
	v_cndmask_b32_e64 v20, v20, v86, s[58:59]
	v_cndmask_b32_e64 v20, v20, v142, s[60:61]
	;; [unrolled: 1-line block ×7, first 2 shown]
	v_fma_f64 v[37:38], v[30:31], v[20:21], v[37:38]
	v_fma_f64 v[28:29], v[33:34], v[30:31], v[28:29]
	v_cndmask_b32_e32 v111, v111, v19, vcc
	v_cndmask_b32_e32 v115, v115, v18, vcc
	v_cndmask_b32_e64 v112, v112, v19, s[8:9]
	v_cndmask_b32_e64 v114, v114, v18, s[8:9]
	;; [unrolled: 1-line block ×15, first 2 shown]
	v_cndmask_b32_e32 v118, v118, v38, vcc
	v_cndmask_b32_e32 v121, v121, v37, vcc
	v_cndmask_b32_e64 v119, v119, v38, s[8:9]
	v_cndmask_b32_e64 v122, v122, v37, s[8:9]
	v_cndmask_b32_e64 v123, v123, v38, s[10:11]
	v_cndmask_b32_e64 v124, v124, v37, s[10:11]
	v_cndmask_b32_e64 v120, v120, v38, s[12:13]
	v_cndmask_b32_e64 v125, v125, v37, s[12:13]
	v_cndmask_b32_e64 v21, v143, v38, s[14:15]
	v_cndmask_b32_e64 v20, v141, v37, s[14:15]
	v_cndmask_b32_e64 v19, v144, v38, s[16:17]
	v_cndmask_b32_e64 v18, v142, v37, s[16:17]
	v_cndmask_b32_e64 v87, v87, v38, s[18:19]
	v_cndmask_b32_e64 v86, v86, v37, s[18:19]
	v_cndmask_b32_e64 v89, v89, v38, s[20:21]
	v_cndmask_b32_e64 v88, v88, v37, s[20:21]
	v_cndmask_b32_e64 v91, v91, v38, s[22:23]
	v_cndmask_b32_e64 v90, v90, v37, s[22:23]
	v_cndmask_b32_e32 v126, v126, v29, vcc
	v_cndmask_b32_e32 v130, v130, v28, vcc
	v_cndmask_b32_e64 v127, v127, v29, s[8:9]
	v_cndmask_b32_e64 v131, v131, v28, s[8:9]
	v_cndmask_b32_e64 v128, v128, v29, s[10:11]
	v_cndmask_b32_e64 v132, v132, v28, s[10:11]
	v_cndmask_b32_e64 v129, v129, v29, s[12:13]
	v_cndmask_b32_e64 v133, v133, v28, s[12:13]
	v_cndmask_b32_e64 v105, v105, v29, s[14:15]
	v_cndmask_b32_e64 v104, v104, v28, s[14:15]
	v_cndmask_b32_e64 v103, v103, v29, s[16:17]
	v_cndmask_b32_e64 v102, v102, v28, s[16:17]
	v_cndmask_b32_e64 v97, v97, v29, s[18:19]
	v_cndmask_b32_e64 v96, v96, v28, s[18:19]
	v_cndmask_b32_e64 v99, v99, v29, s[20:21]
	v_cndmask_b32_e64 v98, v98, v28, s[20:21]
	v_cndmask_b32_e64 v101, v101, v29, s[22:23]
	v_cndmask_b32_e64 v100, v100, v28, s[22:23]
	v_mov_b32_e32 v30, v135
	s_waitcnt vmcnt(0)
	buffer_store_dword v45, off, s[0:3], 0 offset:84
.LBB2_79:
	s_or_b64 exec, exec, s[98:99]
	buffer_store_dword v24, off, s[0:3], 0 offset:80
	s_and_saveexec_b64 s[22:23], s[4:5]
	s_cbranch_execz .LBB2_88
; %bb.80:
	s_mov_b64 s[24:25], 0
	v_mov_b32_e32 v24, 0
	v_mov_b32_e32 v28, v134
	s_branch .LBB2_82
.LBB2_81:                               ;   in Loop: Header=BB2_82 Depth=1
	s_or_b64 exec, exec, s[10:11]
	s_waitcnt vmcnt(0)
	v_cmp_gt_i32_e32 vcc, 0, v29
	s_or_b64 s[24:25], vcc, s[24:25]
	v_mov_b32_e32 v28, v29
	s_andn2_b64 exec, exec, s[24:25]
	s_cbranch_execz .LBB2_88
.LBB2_82:                               ; =>This Inner Loop Header: Depth=1
	v_lshl_add_u32 v31, v28, 2, v24
	buffer_load_dword v29, v31, s[0:3], 0 offen offset:40
	v_cmp_eq_u32_e32 vcc, 1, v28
	v_cndmask_b32_e32 v32, v101, v99, vcc
	v_cmp_eq_u32_e64 s[8:9], 2, v28
	v_cndmask_b32_e64 v32, v32, v97, s[8:9]
	v_cmp_eq_u32_e64 s[10:11], 3, v28
	v_cndmask_b32_e64 v32, v32, v103, s[10:11]
	;; [unrolled: 2-line block ×7, first 2 shown]
	v_cndmask_b32_e32 v32, v100, v98, vcc
	v_cndmask_b32_e64 v32, v32, v96, s[8:9]
	v_cndmask_b32_e64 v32, v32, v102, s[10:11]
	;; [unrolled: 1-line block ×7, first 2 shown]
	v_cmp_ngt_f64_e32 vcc, 0, v[32:33]
	s_mov_b64 s[8:9], 0
	s_and_saveexec_b64 s[10:11], vcc
	s_xor_b64 s[10:11], exec, s[10:11]
	s_cbranch_execnz .LBB2_85
; %bb.83:                               ;   in Loop: Header=BB2_82 Depth=1
	s_or_saveexec_b64 s[10:11], s[10:11]
	v_mov_b32_e32 v32, 0x50
	s_xor_b64 exec, exec, s[10:11]
	s_cbranch_execnz .LBB2_86
.LBB2_84:                               ;   in Loop: Header=BB2_82 Depth=1
	s_or_b64 exec, exec, s[10:11]
	s_and_saveexec_b64 s[10:11], s[8:9]
	s_cbranch_execz .LBB2_81
	s_branch .LBB2_87
.LBB2_85:                               ;   in Loop: Header=BB2_82 Depth=1
	buffer_load_dword v31, off, s[0:3], 0 offset:80
	s_waitcnt vmcnt(0)
	v_cmp_eq_u32_e32 vcc, -1, v31
	s_and_b64 s[8:9], vcc, exec
                                        ; implicit-def: $vgpr31
	s_or_saveexec_b64 s[10:11], s[10:11]
	v_mov_b32_e32 v32, 0x50
	s_xor_b64 exec, exec, s[10:11]
	s_cbranch_execz .LBB2_84
.LBB2_86:                               ;   in Loop: Header=BB2_82 Depth=1
	buffer_load_dword v33, off, s[0:3], 0 offset:84
	v_mov_b32_e32 v32, 0x54
	s_or_b64 s[8:9], s[8:9], exec
	s_waitcnt vmcnt(0)
	buffer_store_dword v33, v31, s[0:3], 0 offen offset:40
	s_or_b64 exec, exec, s[10:11]
	s_and_saveexec_b64 s[10:11], s[8:9]
	s_cbranch_execz .LBB2_81
.LBB2_87:                               ;   in Loop: Header=BB2_82 Depth=1
	buffer_store_dword v28, v32, s[0:3], 0 offen
	s_branch .LBB2_81
.LBB2_88:
	s_or_b64 exec, exec, s[22:23]
	s_and_saveexec_b64 s[8:9], s[6:7]
	s_cbranch_execz .LBB2_90
; %bb.89:
	v_cmp_gt_f64_e32 vcc, 0, v[22:23]
	v_mov_b32_e32 v22, 0
	v_lshl_add_u32 v23, v25, 2, v22
	v_lshl_add_u32 v24, v30, 2, v22
	;; [unrolled: 1-line block ×3, first 2 shown]
	buffer_store_dword v30, v22, s[0:3], 0 offen offset:40
	s_and_b64 s[6:7], s[4:5], vcc
	s_or_b64 s[6:7], s[96:97], s[6:7]
	v_cndmask_b32_e64 v22, v27, -1, s[6:7]
	buffer_store_dword v25, v24, s[0:3], 0 offen offset:40
	buffer_store_dword v22, v23, s[0:3], 0 offen offset:40
.LBB2_90:
	s_or_b64 exec, exec, s[8:9]
	buffer_load_dword v32, off, s[0:3], 0 offset:80
	v_mov_b32_e32 v30, 0
	v_mov_b32_e32 v26, 0
	;; [unrolled: 1-line block ×10, first 2 shown]
	s_waitcnt vmcnt(0)
	v_cmp_lt_i32_e32 vcc, -1, v32
	s_and_saveexec_b64 s[20:21], vcc
	s_cbranch_execz .LBB2_96
; %bb.91:
	v_mov_b32_e32 v136, 0
	v_lshl_add_u32 v22, v32, 2, v136
	buffer_load_dword v38, v22, s[0:3], 0 offen offset:40
	v_mov_b32_e32 v24, 0
	v_mov_b32_e32 v28, 0
	;; [unrolled: 1-line block ×6, first 2 shown]
	s_waitcnt vmcnt(0)
	v_lshl_add_u32 v22, v38, 2, v136
	buffer_load_dword v137, v22, s[0:3], 0 offen offset:40
	v_mov_b32_e32 v22, 0
	v_mov_b32_e32 v23, 0
	s_waitcnt vmcnt(0)
	v_cmp_lt_i32_e32 vcc, -1, v137
	s_and_saveexec_b64 s[22:23], vcc
	s_cbranch_execz .LBB2_95
; %bb.92:
	v_cmp_eq_u32_e32 vcc, 1, v32
	v_cndmask_b32_e32 v22, v1, v3, vcc
	v_cmp_eq_u32_e64 s[6:7], 2, v32
	v_cndmask_b32_e64 v22, v22, v5, s[6:7]
	v_cmp_eq_u32_e64 s[8:9], 3, v32
	v_cndmask_b32_e64 v22, v22, v7, s[8:9]
	;; [unrolled: 2-line block ×7, first 2 shown]
	v_cndmask_b32_e32 v22, v0, v2, vcc
	v_cndmask_b32_e64 v22, v22, v4, s[6:7]
	v_cndmask_b32_e64 v22, v22, v6, s[8:9]
	v_cndmask_b32_e64 v22, v22, v8, s[10:11]
	v_cndmask_b32_e64 v22, v22, v10, s[12:13]
	v_cndmask_b32_e64 v22, v22, v12, s[14:15]
	v_cndmask_b32_e64 v22, v22, v14, s[16:17]
	v_cndmask_b32_e64 v32, v22, v16, s[18:19]
	v_cndmask_b32_e32 v22, v85, v81, vcc
	v_cndmask_b32_e64 v22, v22, v83, s[6:7]
	v_cndmask_b32_e64 v22, v22, v93, s[8:9]
	v_cndmask_b32_e64 v22, v22, v95, s[10:11]
	v_cndmask_b32_e64 v22, v22, v110, s[12:13]
	v_cndmask_b32_e64 v22, v22, v113, s[14:15]
	v_cndmask_b32_e64 v22, v22, v112, s[16:17]
	v_cndmask_b32_e64 v35, v22, v111, s[18:19]
	;; [unrolled: 8-line block ×4, first 2 shown]
	v_cndmask_b32_e32 v22, v90, v88, vcc
	v_cndmask_b32_e64 v22, v22, v86, s[6:7]
	v_cndmask_b32_e64 v22, v22, v18, s[8:9]
	v_cndmask_b32_e64 v22, v22, v20, s[10:11]
	v_cndmask_b32_e64 v22, v22, v125, s[12:13]
	v_cndmask_b32_e64 v22, v22, v124, s[14:15]
	v_cndmask_b32_e64 v22, v22, v122, s[16:17]
	v_cmp_eq_u32_e32 vcc, 1, v38
	v_cndmask_b32_e64 v36, v22, v121, s[18:19]
	v_cndmask_b32_e32 v22, v85, v81, vcc
	v_cmp_eq_u32_e64 s[6:7], 2, v38
	v_cndmask_b32_e64 v22, v22, v83, s[6:7]
	v_cmp_eq_u32_e64 s[8:9], 3, v38
	v_cndmask_b32_e64 v22, v22, v93, s[8:9]
	v_cmp_eq_u32_e64 s[10:11], 4, v38
	v_cndmask_b32_e64 v22, v22, v95, s[10:11]
	v_cmp_eq_u32_e64 s[12:13], 5, v38
	v_cndmask_b32_e64 v22, v22, v110, s[12:13]
	v_cmp_eq_u32_e64 s[14:15], 6, v38
	v_cndmask_b32_e64 v22, v22, v113, s[14:15]
	v_cmp_eq_u32_e64 s[16:17], 7, v38
	v_cndmask_b32_e64 v22, v22, v112, s[16:17]
	v_cmp_eq_u32_e64 s[18:19], 8, v38
	v_cndmask_b32_e64 v39, v22, v111, s[18:19]
	v_cndmask_b32_e32 v22, v84, v80, vcc
	v_cndmask_b32_e64 v22, v22, v82, s[6:7]
	v_cndmask_b32_e64 v22, v22, v92, s[8:9]
	v_cndmask_b32_e64 v22, v22, v94, s[10:11]
	v_cndmask_b32_e64 v22, v22, v117, s[12:13]
	v_cndmask_b32_e64 v22, v22, v116, s[14:15]
	v_cndmask_b32_e64 v22, v22, v114, s[16:17]
	v_cndmask_b32_e64 v38, v22, v115, s[18:19]
	v_cndmask_b32_e32 v22, v1, v3, vcc
	v_cndmask_b32_e64 v22, v22, v5, s[6:7]
	v_cndmask_b32_e64 v22, v22, v7, s[8:9]
	v_cndmask_b32_e64 v22, v22, v9, s[10:11]
	v_cndmask_b32_e64 v22, v22, v11, s[12:13]
	v_cndmask_b32_e64 v22, v22, v13, s[14:15]
	v_cndmask_b32_e64 v22, v22, v15, s[16:17]
	v_cndmask_b32_e64 v41, v22, v17, s[18:19]
	;; [unrolled: 8-line block ×4, first 2 shown]
	v_cndmask_b32_e32 v22, v90, v88, vcc
	v_add_f64 v[42:43], v[38:39], -v[34:35]
	v_add_f64 v[108:109], v[40:41], -v[32:33]
	v_cndmask_b32_e64 v22, v22, v86, s[6:7]
	v_mul_f64 v[44:45], v[32:33], v[36:37]
	v_mul_f64 v[46:47], v[34:35], v[36:37]
	;; [unrolled: 1-line block ×3, first 2 shown]
	v_cndmask_b32_e64 v22, v22, v18, s[8:9]
	v_cndmask_b32_e64 v22, v22, v20, s[10:11]
	v_cndmask_b32_e64 v22, v22, v125, s[12:13]
	v_cndmask_b32_e64 v22, v22, v124, s[14:15]
	v_cndmask_b32_e64 v22, v22, v122, s[16:17]
	v_cndmask_b32_e64 v106, v22, v121, s[18:19]
	v_mov_b32_e32 v26, 0
	v_mov_b32_e32 v28, 0
	v_mov_b32_e32 v24, 0
	v_mov_b32_e32 v22, 0
	v_mov_b32_e32 v27, 0
	v_mov_b32_e32 v29, 0
	v_mov_b32_e32 v25, 0
	v_mov_b32_e32 v23, 0
	s_mov_b64 s[18:19], 0
.LBB2_93:                               ; =>This Inner Loop Header: Depth=1
	v_cmp_eq_u32_e32 vcc, 1, v137
	v_lshl_add_u32 v147, v137, 2, v136
	v_cndmask_b32_e32 v146, v1, v3, vcc
	v_cmp_eq_u32_e64 s[6:7], 2, v137
	v_cndmask_b32_e32 v148, v0, v2, vcc
	v_cndmask_b32_e32 v149, v85, v81, vcc
	;; [unrolled: 1-line block ×5, first 2 shown]
	v_cmp_eq_u32_e32 vcc, 3, v137
	v_cmp_eq_u32_e64 s[8:9], 4, v137
	v_cmp_eq_u32_e64 s[10:11], 5, v137
	;; [unrolled: 1-line block ×5, first 2 shown]
	buffer_load_dword v137, v147, s[0:3], 0 offen offset:40
	v_cndmask_b32_e64 v146, v146, v5, s[6:7]
	v_cndmask_b32_e32 v146, v146, v7, vcc
	v_cndmask_b32_e64 v148, v148, v4, s[6:7]
	v_cndmask_b32_e64 v146, v146, v9, s[8:9]
	;; [unrolled: 1-line block ×3, first 2 shown]
	v_cndmask_b32_e32 v148, v148, v6, vcc
	v_cndmask_b32_e64 v146, v146, v11, s[10:11]
	v_cndmask_b32_e32 v147, v147, v92, vcc
	v_cndmask_b32_e64 v148, v148, v8, s[8:9]
	v_cndmask_b32_e64 v149, v149, v83, s[6:7]
	;; [unrolled: 1-line block ×6, first 2 shown]
	v_cndmask_b32_e32 v149, v149, v93, vcc
	v_cndmask_b32_e64 v147, v147, v117, s[10:11]
	v_cndmask_b32_e64 v148, v148, v12, s[12:13]
	;; [unrolled: 1-line block ×11, first 2 shown]
	v_add_f64 v[148:149], v[146:147], -v[32:33]
	v_cndmask_b32_e32 v150, v150, v19, vcc
	v_cndmask_b32_e32 v151, v151, v18, vcc
	v_cndmask_b32_e64 v150, v150, v21, s[8:9]
	v_cndmask_b32_e64 v151, v151, v20, s[8:9]
	v_cndmask_b32_e64 v150, v150, v120, s[10:11]
	v_cndmask_b32_e64 v151, v151, v125, s[10:11]
	v_cndmask_b32_e64 v154, v150, v123, s[12:13]
	v_cndmask_b32_e64 v150, v152, v112, s[14:15]
	v_cndmask_b32_e64 v152, v153, v114, s[14:15]
	v_cndmask_b32_e64 v155, v151, v124, s[12:13]
	v_cndmask_b32_e64 v151, v150, v111, s[16:17]
	v_cndmask_b32_e64 v150, v152, v115, s[16:17]
	v_add_f64 v[138:139], v[36:37], v[106:107]
	v_fma_f64 v[144:145], v[106:107], v[106:107], v[48:49]
	v_add_f64 v[152:153], v[150:151], -v[34:35]
	v_mul_f64 v[42:43], v[148:149], v[42:43]
	v_cndmask_b32_e64 v154, v154, v119, s[14:15]
	v_cndmask_b32_e64 v156, v155, v122, s[14:15]
	;; [unrolled: 1-line block ×4, first 2 shown]
	v_add_f64 v[140:141], v[32:33], v[40:41]
	v_add_f64 v[142:143], v[34:35], v[38:39]
	;; [unrolled: 1-line block ×3, first 2 shown]
	v_fma_f64 v[144:145], v[154:155], v[154:155], v[144:145]
	v_fma_f64 v[42:43], v[152:153], v[108:109], -v[42:43]
	v_fma_f64 v[40:41], v[40:41], v[106:107], v[44:45]
	v_fma_f64 v[38:39], v[38:39], v[106:107], v[46:47]
	v_add_f64 v[108:109], v[146:147], v[140:141]
	v_add_f64 v[140:141], v[150:151], v[142:143]
	v_fma_f64 v[142:143], v[36:37], v[106:107], v[144:145]
	v_mul_f64 v[144:145], v[138:139], v[42:43]
	v_fma_f64 v[40:41], v[146:147], v[154:155], v[40:41]
	v_fma_f64 v[38:39], v[150:151], v[154:155], v[38:39]
	;; [unrolled: 1-line block ×4, first 2 shown]
	v_mul_f64 v[108:109], v[108:109], v[144:145]
	v_mul_f64 v[140:141], v[140:141], v[144:145]
	v_fma_f64 v[106:107], v[106:107], v[154:155], v[142:143]
	v_fma_f64 v[40:41], v[42:43], v[40:41], v[108:109]
	;; [unrolled: 1-line block ×3, first 2 shown]
	v_mov_b32_e32 v108, v148
	v_mov_b32_e32 v109, v149
	s_waitcnt vmcnt(0)
	v_cmp_gt_i32_e32 vcc, 0, v137
	s_or_b64 s[18:19], vcc, s[18:19]
	v_fma_f64 v[22:23], v[42:43], v[106:107], v[22:23]
	v_add_f64 v[28:29], v[28:29], v[40:41]
	v_add_f64 v[24:25], v[24:25], v[38:39]
	v_mov_b32_e32 v40, v146
	v_mov_b32_e32 v38, v150
	;; [unrolled: 1-line block ×8, first 2 shown]
	s_andn2_b64 exec, exec, s[18:19]
	s_cbranch_execnz .LBB2_93
; %bb.94:
	s_or_b64 exec, exec, s[18:19]
.LBB2_95:
	s_or_b64 exec, exec, s[22:23]
.LBB2_96:
	s_or_b64 exec, exec, s[20:21]
	s_and_saveexec_b64 s[22:23], s[4:5]
	s_cbranch_execz .LBB2_100
; %bb.97:
	s_mov_b32 s26, 0x4ad4b81f
	s_mov_b64 s[24:25], 0
	s_mov_b32 s27, 0xb58dee7a
	v_mov_b32_e32 v30, 0
	v_mov_b32_e32 v31, v134
.LBB2_98:                               ; =>This Inner Loop Header: Depth=1
	v_lshl_add_u32 v34, v31, 2, v30
	v_cmp_eq_u32_e32 vcc, 1, v31
	v_cmp_eq_u32_e64 s[6:7], 2, v31
	v_cmp_eq_u32_e64 s[8:9], 3, v31
	;; [unrolled: 1-line block ×8, first 2 shown]
	buffer_load_dword v31, v34, s[0:3], 0 offen
	v_cndmask_b32_e32 v32, v101, v99, vcc
	v_cndmask_b32_e64 v32, v32, v97, s[6:7]
	v_cndmask_b32_e32 v33, v100, v98, vcc
	v_cndmask_b32_e64 v32, v32, v103, s[8:9]
	v_cndmask_b32_e64 v33, v33, v96, s[6:7]
	;; [unrolled: 1-line block ×13, first 2 shown]
	v_add_f64 v[32:33], -v[32:33], s[26:27]
	v_cndmask_b32_e32 v99, v99, v33, vcc
	v_cndmask_b32_e32 v98, v98, v32, vcc
	v_cndmask_b32_e64 v126, v126, v33, s[18:19]
	v_cndmask_b32_e64 v130, v130, v32, s[18:19]
	v_cndmask_b32_e64 v127, v127, v33, s[16:17]
	v_cndmask_b32_e64 v131, v131, v32, s[16:17]
	v_cndmask_b32_e64 v128, v128, v33, s[14:15]
	v_cndmask_b32_e64 v132, v132, v32, s[14:15]
	v_cndmask_b32_e64 v129, v129, v33, s[12:13]
	v_cndmask_b32_e64 v133, v133, v32, s[12:13]
	v_cndmask_b32_e64 v105, v105, v33, s[10:11]
	v_cndmask_b32_e64 v104, v104, v32, s[10:11]
	v_cndmask_b32_e64 v103, v103, v33, s[8:9]
	v_cndmask_b32_e64 v102, v102, v32, s[8:9]
	v_cndmask_b32_e64 v97, v97, v33, s[6:7]
	v_cndmask_b32_e64 v96, v96, v32, s[6:7]
	v_cndmask_b32_e64 v101, v101, v33, s[20:21]
	v_cndmask_b32_e64 v100, v100, v32, s[20:21]
	s_waitcnt vmcnt(0)
	v_cmp_gt_i32_e32 vcc, 0, v31
	s_or_b64 s[24:25], vcc, s[24:25]
	s_andn2_b64 exec, exec, s[24:25]
	s_cbranch_execnz .LBB2_98
; %bb.99:
	s_or_b64 exec, exec, s[24:25]
	v_cmp_eq_u32_e32 vcc, 1, v134
	v_cndmask_b32_e32 v30, v101, v99, vcc
	v_cmp_eq_u32_e64 s[6:7], 2, v134
	v_cndmask_b32_e64 v30, v30, v97, s[6:7]
	v_cmp_eq_u32_e64 s[8:9], 3, v134
	v_cndmask_b32_e64 v30, v30, v103, s[8:9]
	v_cmp_eq_u32_e64 s[10:11], 4, v134
	v_cndmask_b32_e64 v30, v30, v105, s[10:11]
	v_cmp_eq_u32_e64 s[12:13], 5, v134
	v_cndmask_b32_e64 v30, v30, v129, s[12:13]
	v_cmp_eq_u32_e64 s[14:15], 6, v134
	v_cndmask_b32_e64 v30, v30, v128, s[14:15]
	v_cmp_eq_u32_e64 s[16:17], 7, v134
	v_cndmask_b32_e64 v30, v30, v127, s[16:17]
	v_cmp_eq_u32_e64 s[18:19], 8, v134
	v_cndmask_b32_e64 v31, v30, v126, s[18:19]
	v_cndmask_b32_e32 v30, v100, v98, vcc
	v_cndmask_b32_e64 v30, v30, v96, s[6:7]
	v_cndmask_b32_e64 v30, v30, v102, s[8:9]
	;; [unrolled: 1-line block ×7, first 2 shown]
.LBB2_100:
	s_or_b64 exec, exec, s[22:23]
	v_mov_b32_e32 v33, v31
	v_mov_b32_e32 v36, -1
	v_mov_b32_e32 v38, -1
	;; [unrolled: 1-line block ×3, first 2 shown]
	v_mov_b32_e32 v32, v30
	v_mov_b32_e32 v37, -1
	s_and_saveexec_b64 s[14:15], s[4:5]
	s_cbranch_execz .LBB2_104
; %bb.101:
	v_mov_b32_e32 v35, v31
	v_mov_b32_e32 v36, -1
	s_mov_b64 s[16:17], 0
	v_mov_b32_e32 v40, 0
	v_mov_b32_e32 v41, v134
	v_mov_b32_e32 v38, -1
	v_mov_b32_e32 v39, -1
	;; [unrolled: 1-line block ×3, first 2 shown]
	v_mov_b32_e32 v34, v30
.LBB2_102:                              ; =>This Inner Loop Header: Depth=1
	v_lshl_add_u32 v32, v41, 2, v40
	buffer_load_dword v42, v32, s[0:3], 0 offen
	v_mov_b32_e32 v32, v34
	v_mov_b32_e32 v33, v35
	v_cmp_le_f64_e32 vcc, 0, v[32:33]
	s_waitcnt vmcnt(0)
	v_cmp_gt_i32_e64 s[6:7], 0, v42
	v_cndmask_b32_e64 v43, v42, v134, s[6:7]
	v_cmp_eq_u32_e64 s[8:9], 1, v43
	v_cndmask_b32_e64 v34, v101, v99, s[8:9]
	v_cmp_eq_u32_e64 s[10:11], 2, v43
	v_cndmask_b32_e64 v34, v34, v97, s[10:11]
	v_cndmask_b32_e64 v35, v100, v98, s[8:9]
	v_cmp_eq_u32_e64 s[8:9], 3, v43
	v_cndmask_b32_e64 v34, v34, v103, s[8:9]
	;; [unrolled: 3-line block ×7, first 2 shown]
	v_cndmask_b32_e64 v34, v44, v131, s[8:9]
	v_cndmask_b32_e64 v34, v34, v130, s[10:11]
	v_cmp_gt_f64_e64 s[8:9], 0, v[34:35]
	v_cmp_gt_f64_e64 s[10:11], 0, v[32:33]
	v_cmp_le_f64_e64 s[12:13], 0, v[34:35]
	s_and_b64 vcc, vcc, s[8:9]
	v_cndmask_b32_e32 v39, v39, v43, vcc
	s_and_b64 s[8:9], s[10:11], s[12:13]
	v_cndmask_b32_e64 v37, v37, v43, s[8:9]
	v_cndmask_b32_e32 v36, v36, v41, vcc
	v_cndmask_b32_e64 v38, v38, v41, s[8:9]
	s_or_b64 s[16:17], s[6:7], s[16:17]
	v_mov_b32_e32 v41, v42
	s_andn2_b64 exec, exec, s[16:17]
	s_cbranch_execnz .LBB2_102
; %bb.103:
	s_or_b64 exec, exec, s[16:17]
.LBB2_104:
	s_or_b64 exec, exec, s[14:15]
	v_mov_b32_e32 v34, -1
	v_cmp_lt_i32_e64 s[6:7], -1, v36
	v_mov_b32_e32 v40, -1
	v_mov_b32_e32 v35, -1
	s_and_saveexec_b64 s[96:97], s[6:7]
	s_cbranch_execz .LBB2_106
; %bb.105:
	v_cmp_eq_u32_e64 s[8:9], 1, v39
	v_cndmask_b32_e64 v35, v101, v99, s[8:9]
	v_cmp_eq_u32_e64 s[10:11], 2, v39
	v_cndmask_b32_e64 v35, v35, v97, s[10:11]
	;; [unrolled: 2-line block ×8, first 2 shown]
	v_cndmask_b32_e64 v35, v100, v98, s[8:9]
	v_cndmask_b32_e64 v35, v35, v96, s[10:11]
	;; [unrolled: 1-line block ×7, first 2 shown]
	v_cmp_eq_u32_e64 s[38:39], 1, v36
	v_cndmask_b32_e64 v39, v35, v130, s[22:23]
	v_cndmask_b32_e64 v35, v101, v99, s[38:39]
	v_cmp_eq_u32_e64 s[40:41], 2, v36
	v_cndmask_b32_e64 v35, v35, v97, s[40:41]
	v_cmp_eq_u32_e64 s[24:25], 3, v36
	;; [unrolled: 2-line block ×7, first 2 shown]
	v_cndmask_b32_e64 v44, v35, v126, s[36:37]
	v_cndmask_b32_e64 v35, v100, v98, s[38:39]
	;; [unrolled: 1-line block ×9, first 2 shown]
	v_add_f64 v[41:42], -v[39:40], 0
	v_add_f64 v[45:46], v[43:44], -v[39:40]
	v_cndmask_b32_e64 v140, v85, v81, s[38:39]
	v_cndmask_b32_e64 v138, v1, v3, s[38:39]
	;; [unrolled: 1-line block ×3, first 2 shown]
	v_cmp_eq_u32_e64 s[80:81], 1, v135
	v_cmp_eq_u32_e64 s[82:83], 0, v135
	v_cmp_eq_u32_e64 s[78:79], 2, v135
	v_cmp_eq_u32_e64 s[76:77], 3, v135
	v_div_scale_f64 v[47:48], s[42:43], v[45:46], v[45:46], v[41:42]
	v_cmp_eq_u32_e64 s[42:43], 1, v38
	v_cmp_eq_u32_e64 s[44:45], 2, v38
	;; [unrolled: 1-line block ×14, first 2 shown]
	v_rcp_f64_e32 v[106:107], v[47:48]
	v_cmp_eq_u32_e64 s[58:59], 2, v37
	v_cmp_eq_u32_e64 s[60:61], 3, v37
	;; [unrolled: 1-line block ×7, first 2 shown]
	v_mov_b32_e32 v49, 0
	v_cndmask_b32_e64 v142, v85, v81, s[8:9]
	v_lshl_add_u32 v35, v135, 2, v49
	buffer_load_dword v35, v35, s[0:3], 0 offen
	v_cndmask_b32_e64 v141, v84, v80, s[38:39]
	v_fma_f64 v[108:109], -v[47:48], v[106:107], 1.0
	v_fma_f64 v[106:107], v[106:107], v[108:109], v[106:107]
	v_div_scale_f64 v[108:109], vcc, v[41:42], v[45:46], v[41:42]
	v_fma_f64 v[136:137], -v[47:48], v[106:107], 1.0
	v_fma_f64 v[106:107], v[106:107], v[136:137], v[106:107]
	v_mul_f64 v[136:137], v[108:109], v[106:107]
	v_fma_f64 v[47:48], -v[47:48], v[136:137], v[108:109]
	v_cndmask_b32_e64 v108, v1, v3, s[8:9]
	v_cndmask_b32_e64 v109, v0, v2, s[8:9]
	;; [unrolled: 1-line block ×7, first 2 shown]
	v_div_fmas_f64 v[47:48], v[47:48], v[106:107], v[136:137]
	v_cndmask_b32_e64 v136, v140, v83, s[40:41]
	v_cndmask_b32_e64 v136, v136, v93, s[24:25]
	;; [unrolled: 1-line block ×15, first 2 shown]
	v_div_fixup_f64 v[41:42], v[47:48], v[45:46], v[41:42]
	v_cndmask_b32_e64 v45, v109, v8, s[14:15]
	v_cndmask_b32_e64 v48, v108, v11, s[16:17]
	;; [unrolled: 1-line block ×7, first 2 shown]
	v_add_f64 v[45:46], -v[41:42], 1.0
	v_cndmask_b32_e64 v47, v47, v15, s[20:21]
	v_cndmask_b32_e64 v108, v48, v14, s[20:21]
	;; [unrolled: 1-line block ×7, first 2 shown]
	v_mul_f64 v[39:40], v[39:40], v[45:46]
	v_mul_f64 v[47:48], v[47:48], v[45:46]
	v_cndmask_b32_e64 v109, v137, v95, s[14:15]
	v_fma_f64 v[39:40], v[43:44], v[41:42], v[39:40]
	v_fma_f64 v[47:48], v[106:107], v[41:42], v[47:48]
	v_cndmask_b32_e64 v106, v109, v110, s[16:17]
	v_cndmask_b32_e64 v107, v136, v113, s[30:31]
	;; [unrolled: 1-line block ×60, first 2 shown]
	v_add_f64 v[12:13], -v[38:39], 0
	v_add_f64 v[14:15], v[43:44], -v[38:39]
	v_cndmask_b32_e64 v0, v108, v112, s[20:21]
	v_cndmask_b32_e64 v144, v17, v48, s[84:85]
	;; [unrolled: 1-line block ×7, first 2 shown]
	v_div_scale_f64 v[96:97], s[98:99], v[14:15], v[14:15], v[12:13]
	v_cndmask_b32_e64 v0, v0, v117, s[16:17]
	v_cndmask_b32_e64 v0, v0, v116, s[18:19]
	v_cndmask_b32_e64 v0, v0, v114, s[20:21]
	v_cndmask_b32_e64 v107, v16, v47, s[84:85]
	v_cndmask_b32_e64 v16, v0, v115, s[22:23]
	v_mul_f64 v[16:17], v[16:17], v[45:46]
	v_cndmask_b32_e64 v0, v141, v82, s[40:41]
	v_cndmask_b32_e64 v0, v0, v92, s[24:25]
	;; [unrolled: 1-line block ×8, first 2 shown]
	v_fma_f64 v[16:17], v[105:106], v[41:42], v[16:17]
	v_cndmask_b32_e64 v105, v9, v48, s[74:75]
	v_rcp_f64_e32 v[8:9], v[96:97]
	v_cndmask_b32_e64 v150, v1, v48, s[82:83]
	v_cndmask_b32_e64 v141, v3, v48, s[80:81]
	;; [unrolled: 1-line block ×15, first 2 shown]
	v_fma_f64 v[0:1], -v[96:97], v[8:9], 1.0
	v_cndmask_b32_e64 v3, v91, v89, s[8:9]
	v_cndmask_b32_e64 v106, v7, v48, s[76:77]
	;; [unrolled: 1-line block ×4, first 2 shown]
	v_div_scale_f64 v[5:6], vcc, v[12:13], v[14:15], v[12:13]
	v_cndmask_b32_e64 v137, v10, v47, s[90:91]
	v_fma_f64 v[0:1], v[8:9], v[0:1], v[8:9]
	v_cndmask_b32_e64 v7, v7, v19, s[12:13]
	v_cndmask_b32_e64 v7, v7, v21, s[14:15]
	;; [unrolled: 1-line block ×6, first 2 shown]
	s_waitcnt vmcnt(0)
	v_lshl_add_u32 v7, v35, 2, v49
	v_fma_f64 v[3:4], -v[96:97], v[0:1], 1.0
	buffer_load_dword v49, v7, s[0:3], 0 offen
	v_cndmask_b32_e64 v142, v2, v47, s[80:81]
	v_cndmask_b32_e64 v2, v91, v89, s[38:39]
	;; [unrolled: 1-line block ×6, first 2 shown]
	v_fma_f64 v[3:4], v[0:1], v[3:4], v[0:1]
	v_cndmask_b32_e64 v0, v90, v88, s[8:9]
	v_cndmask_b32_e64 v0, v0, v86, s[10:11]
	;; [unrolled: 1-line block ×7, first 2 shown]
	v_mul_f64 v[9:10], v[5:6], v[3:4]
	v_cndmask_b32_e64 v7, v0, v121, s[22:23]
	v_mul_f64 v[7:8], v[45:46], v[7:8]
	v_cndmask_b32_e64 v0, v16, v18, s[24:25]
	v_cndmask_b32_e64 v0, v0, v20, s[26:27]
	;; [unrolled: 1-line block ×5, first 2 shown]
	v_fma_f64 v[5:6], -v[96:97], v[9:10], v[5:6]
	v_cndmask_b32_e64 v2, v2, v119, s[34:35]
	v_cndmask_b32_e64 v0, v0, v122, s[34:35]
	;; [unrolled: 1-line block ×4, first 2 shown]
	v_fma_f64 v[0:1], v[41:42], v[1:2], v[7:8]
	v_cndmask_b32_e64 v11, v11, v48, s[90:91]
	v_cndmask_b32_e64 v81, v81, v17, s[80:81]
	v_div_fmas_f64 v[2:3], v[5:6], v[3:4], v[9:10]
	v_cndmask_b32_e64 v85, v85, v17, s[82:83]
	v_cndmask_b32_e64 v83, v83, v17, s[78:79]
	;; [unrolled: 1-line block ×15, first 2 shown]
	v_div_fixup_f64 v[40:41], v[2:3], v[14:15], v[12:13]
	v_cndmask_b32_e64 v2, v150, v141, s[42:43]
	v_cndmask_b32_e64 v2, v2, v108, s[44:45]
	;; [unrolled: 1-line block ×9, first 2 shown]
	v_add_f64 v[45:46], -v[40:41], 1.0
	v_cndmask_b32_e64 v2, v2, v140, s[44:45]
	v_cndmask_b32_e64 v2, v2, v139, s[46:47]
	;; [unrolled: 1-line block ×14, first 2 shown]
	v_mul_f64 v[4:5], v[4:5], v[45:46]
	v_cndmask_b32_e64 v0, v0, v140, s[58:59]
	v_cndmask_b32_e64 v0, v0, v139, s[60:61]
	;; [unrolled: 1-line block ×7, first 2 shown]
	v_fma_f64 v[47:48], v[2:3], v[40:41], v[4:5]
	v_cndmask_b32_e64 v2, v85, v81, s[42:43]
	v_cndmask_b32_e64 v2, v2, v83, s[44:45]
	;; [unrolled: 1-line block ×38, first 2 shown]
	v_mul_f64 v[2:3], v[2:3], v[45:46]
	v_cndmask_b32_e64 v0, v0, v82, s[58:59]
	v_cndmask_b32_e64 v0, v0, v92, s[60:61]
	;; [unrolled: 1-line block ×7, first 2 shown]
	v_fma_f64 v[18:19], v[0:1], v[40:41], v[2:3]
	v_cmp_eq_u32_e64 s[14:15], 4, v35
	v_cmp_eq_u32_e32 vcc, 8, v35
	v_cmp_eq_u32_e64 s[8:9], 7, v35
	v_cmp_eq_u32_e64 s[10:11], 6, v35
	;; [unrolled: 1-line block ×5, first 2 shown]
	v_cndmask_b32_e64 v95, v42, v19, s[14:15]
	v_cndmask_b32_e64 v42, v91, v89, s[42:43]
	;; [unrolled: 1-line block ×7, first 2 shown]
	v_cmp_eq_u32_e64 s[20:21], 1, v35
	v_cmp_eq_u32_e64 s[22:23], 0, v35
	v_cndmask_b32_e64 v42, v42, v119, s[54:55]
	v_cndmask_b32_e32 v17, v144, v48, vcc
	v_cndmask_b32_e64 v15, v145, v48, s[8:9]
	v_cndmask_b32_e64 v13, v146, v48, s[10:11]
	;; [unrolled: 1-line block ×22, first 2 shown]
	v_cndmask_b32_e32 v16, v107, v47, vcc
	v_cndmask_b32_e64 v14, v109, v47, s[8:9]
	v_cndmask_b32_e64 v12, v136, v47, s[10:11]
	v_cndmask_b32_e64 v10, v137, v47, s[12:13]
	v_cndmask_b32_e64 v8, v138, v47, s[14:15]
	v_cndmask_b32_e64 v6, v139, v47, s[16:17]
	v_cndmask_b32_e64 v4, v140, v47, s[18:19]
	v_cndmask_b32_e64 v2, v142, v47, s[20:21]
	v_cndmask_b32_e64 v0, v143, v47, s[22:23]
	v_cndmask_b32_e64 v20, v20, v119, s[68:69]
	v_cndmask_b32_e64 v47, v42, v96, s[56:57]
	v_cndmask_b32_e64 v21, v20, v118, s[70:71]
	v_cndmask_b32_e64 v20, v90, v88, s[72:73]
	v_mul_f64 v[47:48], v[45:46], v[47:48]
	v_mul_f64 v[38:39], v[38:39], v[45:46]
	v_cndmask_b32_e64 v20, v20, v86, s[58:59]
	v_cndmask_b32_e64 v20, v20, v152, s[60:61]
	;; [unrolled: 1-line block ×7, first 2 shown]
	v_fma_f64 v[47:48], v[40:41], v[20:21], v[47:48]
	v_fma_f64 v[38:39], v[43:44], v[40:41], v[38:39]
	v_cndmask_b32_e32 v111, v111, v19, vcc
	v_cndmask_b32_e32 v115, v115, v18, vcc
	v_cndmask_b32_e64 v112, v112, v19, s[8:9]
	v_cndmask_b32_e64 v114, v114, v18, s[8:9]
	v_cndmask_b32_e64 v113, v113, v19, s[10:11]
	v_cndmask_b32_e64 v116, v116, v18, s[10:11]
	v_cndmask_b32_e64 v110, v110, v19, s[12:13]
	v_cndmask_b32_e64 v117, v117, v18, s[12:13]
	v_cndmask_b32_e64 v94, v94, v18, s[14:15]
	v_cndmask_b32_e64 v93, v93, v19, s[16:17]
	v_cndmask_b32_e64 v92, v92, v18, s[16:17]
	v_cndmask_b32_e64 v83, v83, v19, s[18:19]
	v_cndmask_b32_e64 v82, v82, v18, s[18:19]
	v_cndmask_b32_e64 v81, v81, v19, s[20:21]
	v_cndmask_b32_e64 v80, v80, v18, s[20:21]
	v_cndmask_b32_e64 v85, v85, v19, s[22:23]
	v_cndmask_b32_e64 v84, v84, v18, s[22:23]
	v_cndmask_b32_e32 v118, v118, v48, vcc
	v_cndmask_b32_e32 v121, v96, v47, vcc
	v_cndmask_b32_e64 v119, v119, v48, s[8:9]
	v_cndmask_b32_e64 v122, v97, v47, s[8:9]
	;; [unrolled: 1-line block ×16, first 2 shown]
	v_cndmask_b32_e32 v126, v126, v39, vcc
	v_cndmask_b32_e32 v130, v130, v38, vcc
	v_cndmask_b32_e64 v127, v127, v39, s[8:9]
	v_cndmask_b32_e64 v131, v131, v38, s[8:9]
	;; [unrolled: 1-line block ×16, first 2 shown]
	v_mov_b32_e32 v40, v135
	s_waitcnt vmcnt(0)
	buffer_store_dword v49, off, s[0:3], 0 offset:92
.LBB2_106:
	s_or_b64 exec, exec, s[96:97]
	buffer_store_dword v34, off, s[0:3], 0 offset:88
	s_and_saveexec_b64 s[20:21], s[4:5]
	s_cbranch_execz .LBB2_115
; %bb.107:
	s_mov_b64 s[22:23], 0
	v_mov_b32_e32 v34, 0
	s_branch .LBB2_109
.LBB2_108:                              ;   in Loop: Header=BB2_109 Depth=1
	s_or_b64 exec, exec, s[8:9]
	s_waitcnt vmcnt(0)
	v_cmp_gt_i32_e32 vcc, 0, v38
	s_or_b64 s[22:23], vcc, s[22:23]
	v_mov_b32_e32 v134, v38
	s_andn2_b64 exec, exec, s[22:23]
	s_cbranch_execz .LBB2_115
.LBB2_109:                              ; =>This Inner Loop Header: Depth=1
	v_lshl_add_u32 v39, v134, 2, v34
	buffer_load_dword v38, v39, s[0:3], 0 offen
	v_cmp_eq_u32_e32 vcc, 1, v134
	v_cndmask_b32_e32 v41, v101, v99, vcc
	v_cmp_eq_u32_e64 s[4:5], 2, v134
	v_cndmask_b32_e64 v41, v41, v97, s[4:5]
	v_cmp_eq_u32_e64 s[8:9], 3, v134
	v_cndmask_b32_e64 v41, v41, v103, s[8:9]
	;; [unrolled: 2-line block ×7, first 2 shown]
	v_cndmask_b32_e32 v41, v100, v98, vcc
	v_cndmask_b32_e64 v41, v41, v96, s[4:5]
	v_cndmask_b32_e64 v41, v41, v102, s[8:9]
	;; [unrolled: 1-line block ×7, first 2 shown]
	v_cmp_ngt_f64_e32 vcc, 0, v[41:42]
	s_mov_b64 s[4:5], 0
	s_and_saveexec_b64 s[8:9], vcc
	s_xor_b64 s[8:9], exec, s[8:9]
	s_cbranch_execnz .LBB2_112
; %bb.110:                              ;   in Loop: Header=BB2_109 Depth=1
	s_or_saveexec_b64 s[8:9], s[8:9]
	v_mov_b32_e32 v41, 0x58
	s_xor_b64 exec, exec, s[8:9]
	s_cbranch_execnz .LBB2_113
.LBB2_111:                              ;   in Loop: Header=BB2_109 Depth=1
	s_or_b64 exec, exec, s[8:9]
	s_and_saveexec_b64 s[8:9], s[4:5]
	s_cbranch_execz .LBB2_108
	s_branch .LBB2_114
.LBB2_112:                              ;   in Loop: Header=BB2_109 Depth=1
	buffer_load_dword v39, off, s[0:3], 0 offset:88
	s_waitcnt vmcnt(0)
	v_cmp_eq_u32_e32 vcc, -1, v39
	s_and_b64 s[4:5], vcc, exec
                                        ; implicit-def: $vgpr39
	s_or_saveexec_b64 s[8:9], s[8:9]
	v_mov_b32_e32 v41, 0x58
	s_xor_b64 exec, exec, s[8:9]
	s_cbranch_execz .LBB2_111
.LBB2_113:                              ;   in Loop: Header=BB2_109 Depth=1
	buffer_load_dword v42, off, s[0:3], 0 offset:92
	v_mov_b32_e32 v41, 0x5c
	s_or_b64 s[4:5], s[4:5], exec
	s_waitcnt vmcnt(0)
	buffer_store_dword v42, v39, s[0:3], 0 offen
	s_or_b64 exec, exec, s[8:9]
	s_and_saveexec_b64 s[8:9], s[4:5]
	s_cbranch_execz .LBB2_108
.LBB2_114:                              ;   in Loop: Header=BB2_109 Depth=1
	buffer_store_dword v134, v41, s[0:3], 0 offen
	s_branch .LBB2_108
.LBB2_115:
	s_or_b64 exec, exec, s[20:21]
	s_and_saveexec_b64 s[4:5], s[6:7]
	s_cbranch_execz .LBB2_117
; %bb.116:
	v_max_f64 v[30:31], v[30:31], v[30:31]
	v_max_f64 v[32:33], v[32:33], v[32:33]
	v_min_f64 v[30:31], v[32:33], v[30:31]
	v_mov_b32_e32 v32, 0
	v_lshl_add_u32 v33, v35, 2, v32
	v_lshl_add_u32 v34, v40, 2, v32
	v_lshl_add_u32 v32, v36, 2, v32
	buffer_store_dword v40, v32, s[0:3], 0 offen
	v_cmp_ngt_f64_e32 vcc, 0, v[30:31]
	v_cndmask_b32_e32 v30, -1, v37, vcc
	buffer_store_dword v35, v34, s[0:3], 0 offen
	buffer_store_dword v30, v33, s[0:3], 0 offen
.LBB2_117:
	s_or_b64 exec, exec, s[4:5]
	buffer_load_dword v30, off, s[0:3], 0 offset:88
	s_waitcnt vmcnt(0)
	v_cmp_lt_i32_e32 vcc, -1, v30
	s_and_saveexec_b64 s[20:21], vcc
	s_cbranch_execz .LBB2_121
; %bb.118:
	s_mov_b64 s[22:23], 0
	v_mov_b32_e32 v31, 0
	v_mov_b32_e32 v32, v30
.LBB2_119:                              ; =>This Inner Loop Header: Depth=1
	v_lshl_add_u32 v37, v32, 2, v31
	v_cmp_eq_u32_e32 vcc, 1, v32
	v_cmp_eq_u32_e64 s[4:5], 2, v32
	v_cmp_eq_u32_e64 s[6:7], 3, v32
	v_cmp_eq_u32_e64 s[8:9], 4, v32
	v_cmp_eq_u32_e64 s[10:11], 5, v32
	v_cmp_eq_u32_e64 s[12:13], 6, v32
	v_cmp_eq_u32_e64 s[14:15], 7, v32
	v_cmp_eq_u32_e64 s[16:17], 8, v32
	v_cmp_eq_u32_e64 s[18:19], 0, v32
	buffer_load_dword v32, v37, s[0:3], 0 offen
	v_cndmask_b32_e32 v33, v1, v3, vcc
	v_cndmask_b32_e64 v33, v33, v5, s[4:5]
	v_cndmask_b32_e32 v34, v0, v2, vcc
	v_cndmask_b32_e64 v33, v33, v7, s[6:7]
	v_cndmask_b32_e64 v34, v34, v4, s[4:5]
	;; [unrolled: 1-line block ×13, first 2 shown]
	v_cndmask_b32_e32 v35, v85, v81, vcc
	v_cndmask_b32_e32 v36, v84, v80, vcc
	v_add_f64 v[33:34], -v[33:34], 1.0
	v_cndmask_b32_e64 v35, v35, v83, s[4:5]
	v_cndmask_b32_e64 v36, v36, v82, s[4:5]
	;; [unrolled: 1-line block ×14, first 2 shown]
	v_add_f64 v[33:34], v[33:34], -v[35:36]
	v_cndmask_b32_e32 v89, v89, v34, vcc
	v_cndmask_b32_e32 v88, v88, v33, vcc
	v_cndmask_b32_e64 v118, v118, v34, s[16:17]
	v_cndmask_b32_e64 v121, v121, v33, s[16:17]
	v_cndmask_b32_e64 v119, v119, v34, s[14:15]
	v_cndmask_b32_e64 v122, v122, v33, s[14:15]
	v_cndmask_b32_e64 v123, v123, v34, s[12:13]
	v_cndmask_b32_e64 v124, v124, v33, s[12:13]
	v_cndmask_b32_e64 v120, v120, v34, s[10:11]
	v_cndmask_b32_e64 v125, v125, v33, s[10:11]
	v_cndmask_b32_e64 v21, v21, v34, s[8:9]
	v_cndmask_b32_e64 v20, v20, v33, s[8:9]
	v_cndmask_b32_e64 v19, v19, v34, s[6:7]
	v_cndmask_b32_e64 v18, v18, v33, s[6:7]
	v_cndmask_b32_e64 v87, v87, v34, s[4:5]
	v_cndmask_b32_e64 v86, v86, v33, s[4:5]
	v_cndmask_b32_e64 v91, v91, v34, s[18:19]
	v_cndmask_b32_e64 v90, v90, v33, s[18:19]
	s_waitcnt vmcnt(0)
	v_cmp_gt_i32_e32 vcc, 0, v32
	s_or_b64 s[22:23], vcc, s[22:23]
	s_andn2_b64 exec, exec, s[22:23]
	s_cbranch_execnz .LBB2_119
; %bb.120:
	s_or_b64 exec, exec, s[22:23]
.LBB2_121:
	s_or_b64 exec, exec, s[20:21]
	v_cmp_lt_i32_e32 vcc, -1, v30
	s_and_saveexec_b64 s[18:19], vcc
	s_cbranch_execz .LBB2_127
; %bb.122:
	v_mov_b32_e32 v98, 0
	v_lshl_add_u32 v31, v30, 2, v98
	buffer_load_dword v36, v31, s[0:3], 0 offen
	s_waitcnt vmcnt(0)
	v_lshl_add_u32 v31, v36, 2, v98
	buffer_load_dword v99, v31, s[0:3], 0 offen
	s_waitcnt vmcnt(0)
	v_cmp_lt_i32_e32 vcc, -1, v99
	s_and_saveexec_b64 s[20:21], vcc
	s_cbranch_execz .LBB2_126
; %bb.123:
	v_cmp_eq_u32_e32 vcc, 1, v30
	v_cmp_eq_u32_e64 s[4:5], 2, v30
	v_cndmask_b32_e32 v32, v85, v81, vcc
	v_cndmask_b32_e32 v34, v91, v89, vcc
	v_cmp_eq_u32_e64 s[6:7], 3, v30
	v_cndmask_b32_e64 v32, v32, v83, s[4:5]
	v_cndmask_b32_e64 v34, v34, v87, s[4:5]
	v_cmp_eq_u32_e64 s[8:9], 4, v30
	v_cndmask_b32_e64 v32, v32, v93, s[6:7]
	v_cndmask_b32_e64 v34, v34, v19, s[6:7]
	;; [unrolled: 3-line block ×6, first 2 shown]
	v_cndmask_b32_e32 v31, v1, v3, vcc
	v_cndmask_b32_e32 v30, v0, v2, vcc
	v_cndmask_b32_e64 v33, v32, v111, s[16:17]
	v_cndmask_b32_e32 v32, v84, v80, vcc
	v_cndmask_b32_e64 v35, v34, v118, s[16:17]
	v_cndmask_b32_e32 v34, v90, v88, vcc
	v_cmp_eq_u32_e32 vcc, 1, v36
	v_cndmask_b32_e64 v31, v31, v5, s[4:5]
	v_cndmask_b32_e64 v30, v30, v4, s[4:5]
	;; [unrolled: 1-line block ×4, first 2 shown]
	v_cmp_eq_u32_e64 s[4:5], 2, v36
	v_cndmask_b32_e32 v38, v1, v3, vcc
	v_cndmask_b32_e64 v31, v31, v7, s[6:7]
	v_cndmask_b32_e64 v30, v30, v6, s[6:7]
	v_cndmask_b32_e64 v32, v32, v92, s[6:7]
	v_cndmask_b32_e64 v34, v34, v18, s[6:7]
	v_cmp_eq_u32_e64 s[6:7], 3, v36
	v_cndmask_b32_e64 v38, v38, v5, s[4:5]
	v_cndmask_b32_e64 v31, v31, v9, s[8:9]
	v_cndmask_b32_e64 v30, v30, v8, s[8:9]
	v_cndmask_b32_e64 v32, v32, v94, s[8:9]
	v_cndmask_b32_e64 v34, v34, v20, s[8:9]
	v_cmp_eq_u32_e64 s[8:9], 4, v36
	v_cndmask_b32_e64 v38, v38, v7, s[6:7]
	;; [unrolled: 6-line block ×6, first 2 shown]
	v_cndmask_b32_e32 v37, v85, v81, vcc
	v_cndmask_b32_e32 v36, v84, v80, vcc
	v_cndmask_b32_e64 v39, v38, v17, s[16:17]
	v_cndmask_b32_e32 v38, v0, v2, vcc
	v_cndmask_b32_e32 v42, v91, v89, vcc
	v_cndmask_b32_e64 v37, v37, v83, s[4:5]
	v_cndmask_b32_e64 v36, v36, v82, s[4:5]
	;; [unrolled: 1-line block ×28, first 2 shown]
	v_cndmask_b32_e32 v42, v90, v88, vcc
	v_add_f64 v[40:41], v[36:37], -v[32:33]
	v_add_f64 v[96:97], v[38:39], -v[30:31]
	v_cndmask_b32_e64 v48, v42, v86, s[4:5]
	v_mul_f64 v[42:43], v[30:31], v[34:35]
	v_mul_f64 v[44:45], v[32:33], v[34:35]
	;; [unrolled: 1-line block ×3, first 2 shown]
	v_cndmask_b32_e64 v48, v48, v18, s[6:7]
	v_cndmask_b32_e64 v48, v48, v20, s[8:9]
	;; [unrolled: 1-line block ×6, first 2 shown]
	s_mov_b64 s[16:17], 0
.LBB2_124:                              ; =>This Inner Loop Header: Depth=1
	v_cmp_eq_u32_e32 vcc, 1, v99
	v_lshl_add_u32 v109, v99, 2, v98
	v_cndmask_b32_e32 v108, v1, v3, vcc
	v_cmp_eq_u32_e64 s[4:5], 2, v99
	v_cndmask_b32_e32 v126, v0, v2, vcc
	v_cndmask_b32_e32 v127, v85, v81, vcc
	;; [unrolled: 1-line block ×5, first 2 shown]
	v_cmp_eq_u32_e32 vcc, 3, v99
	v_cmp_eq_u32_e64 s[6:7], 4, v99
	v_cmp_eq_u32_e64 s[8:9], 5, v99
	;; [unrolled: 1-line block ×5, first 2 shown]
	buffer_load_dword v99, v109, s[0:3], 0 offen
	v_cndmask_b32_e64 v108, v108, v5, s[4:5]
	v_cndmask_b32_e32 v108, v108, v7, vcc
	v_cndmask_b32_e64 v126, v126, v4, s[4:5]
	v_cndmask_b32_e64 v108, v108, v9, s[6:7]
	v_cndmask_b32_e64 v109, v128, v82, s[4:5]
	v_cndmask_b32_e32 v126, v126, v6, vcc
	v_cndmask_b32_e64 v108, v108, v11, s[8:9]
	v_cndmask_b32_e32 v109, v109, v92, vcc
	v_cndmask_b32_e64 v126, v126, v8, s[6:7]
	v_cndmask_b32_e64 v127, v127, v83, s[4:5]
	;; [unrolled: 1-line block ×6, first 2 shown]
	v_cndmask_b32_e32 v127, v127, v93, vcc
	v_cndmask_b32_e64 v109, v109, v117, s[8:9]
	v_cndmask_b32_e64 v126, v126, v12, s[10:11]
	;; [unrolled: 1-line block ×11, first 2 shown]
	v_add_f64 v[126:127], v[108:109], -v[30:31]
	v_cndmask_b32_e32 v128, v128, v19, vcc
	v_cndmask_b32_e32 v129, v129, v18, vcc
	v_cndmask_b32_e64 v128, v128, v21, s[6:7]
	v_cndmask_b32_e64 v129, v129, v20, s[6:7]
	;; [unrolled: 1-line block ×10, first 2 shown]
	v_add_f64 v[100:101], v[34:35], v[48:49]
	v_fma_f64 v[106:107], v[48:49], v[48:49], v[46:47]
	v_add_f64 v[130:131], v[128:129], -v[32:33]
	v_mul_f64 v[40:41], v[126:127], v[40:41]
	v_cndmask_b32_e64 v132, v132, v119, s[12:13]
	v_cndmask_b32_e64 v134, v133, v122, s[12:13]
	;; [unrolled: 1-line block ×4, first 2 shown]
	v_add_f64 v[102:103], v[30:31], v[38:39]
	v_add_f64 v[104:105], v[32:33], v[36:37]
	;; [unrolled: 1-line block ×3, first 2 shown]
	v_fma_f64 v[106:107], v[132:133], v[132:133], v[106:107]
	v_fma_f64 v[40:41], v[130:131], v[96:97], -v[40:41]
	v_fma_f64 v[38:39], v[38:39], v[48:49], v[42:43]
	v_fma_f64 v[36:37], v[36:37], v[48:49], v[44:45]
	v_add_f64 v[96:97], v[108:109], v[102:103]
	v_add_f64 v[102:103], v[128:129], v[104:105]
	v_fma_f64 v[104:105], v[34:35], v[48:49], v[106:107]
	v_mul_f64 v[106:107], v[100:101], v[40:41]
	v_fma_f64 v[38:39], v[108:109], v[132:133], v[38:39]
	v_fma_f64 v[36:37], v[128:129], v[132:133], v[36:37]
	;; [unrolled: 1-line block ×4, first 2 shown]
	v_mul_f64 v[96:97], v[96:97], v[106:107]
	v_mul_f64 v[102:103], v[102:103], v[106:107]
	v_fma_f64 v[48:49], v[48:49], v[132:133], v[104:105]
	v_fma_f64 v[38:39], v[40:41], v[38:39], v[96:97]
	v_fma_f64 v[36:37], v[40:41], v[36:37], v[102:103]
	v_mov_b32_e32 v96, v126
	v_mov_b32_e32 v97, v127
	s_waitcnt vmcnt(0)
	v_cmp_gt_i32_e32 vcc, 0, v99
	s_or_b64 s[16:17], vcc, s[16:17]
	v_fma_f64 v[22:23], v[40:41], v[48:49], v[22:23]
	v_add_f64 v[28:29], v[28:29], v[38:39]
	v_add_f64 v[24:25], v[24:25], v[36:37]
	v_mov_b32_e32 v38, v108
	v_mov_b32_e32 v36, v128
	;; [unrolled: 1-line block ×8, first 2 shown]
	s_andn2_b64 exec, exec, s[16:17]
	s_cbranch_execnz .LBB2_124
; %bb.125:
	s_or_b64 exec, exec, s[16:17]
.LBB2_126:
	s_or_b64 exec, exec, s[20:21]
.LBB2_127:
	s_or_b64 exec, exec, s[18:19]
	s_mov_b32 s5, 0x3fc55555
	s_mov_b32 s4, 0x55555555
	v_mul_f64 v[0:1], v[26:27], s[4:5]
	s_mov_b32 s5, 0x3fa55555
	v_mul_f64 v[2:3], v[28:29], s[4:5]
	v_mul_f64 v[8:9], v[24:25], s[4:5]
	;; [unrolled: 1-line block ×3, first 2 shown]
	v_fma_f64 v[22:23], v[78:79], v[0:1], 0
	v_mul_f64 v[4:5], v[74:75], v[2:3]
	v_mul_f64 v[6:7], v[76:77], v[2:3]
	;; [unrolled: 1-line block ×3, first 2 shown]
	v_fma_f64 v[4:5], v[60:61], v[0:1], v[4:5]
	v_fma_f64 v[6:7], v[54:55], v[0:1], v[6:7]
	;; [unrolled: 1-line block ×12, first 2 shown]
.LBB2_128:
	s_or_b64 exec, exec, s[94:95]
	s_movk_i32 s6, 0x48
	v_mad_u64_u32 v[6:7], s[4:5], v58, s6, 0
	v_and_b32_e32 v55, 0xffffffc0, v57
	v_mov_b32_e32 v2, 0
	v_mov_b32_e32 v0, v7
	v_mad_u64_u32 v[7:8], s[4:5], v59, s6, v[0:1]
	v_mov_b32_e32 v0, v22
	v_mov_b32_e32 v4, v16
	v_cmp_gt_i64_e32 vcc, v[6:7], v[55:56]
	v_mov_b32_e32 v6, v20
	v_mov_b32_e32 v8, 0
	;; [unrolled: 1-line block ×13, first 2 shown]
	s_and_saveexec_b64 s[4:5], vcc
	s_cbranch_execz .LBB2_130
; %bb.129:
	v_mov_b32_e32 v0, 0
	v_mov_b32_e32 v4, 0
	v_mov_b32_e32 v6, 0
	v_mov_b32_e32 v12, 0
	v_mov_b32_e32 v2, v18
	v_mov_b32_e32 v8, v20
	v_mov_b32_e32 v10, v16
	v_mov_b32_e32 v14, v22
	v_mov_b32_e32 v1, 0
	v_mov_b32_e32 v5, 0
	v_mov_b32_e32 v7, 0
	v_mov_b32_e32 v13, 0
	v_mov_b32_e32 v3, v19
	v_mov_b32_e32 v9, v21
	v_mov_b32_e32 v11, v17
	v_mov_b32_e32 v15, v23
.LBB2_130:
	s_or_b64 exec, exec, s[4:5]
	v_mbcnt_lo_u32_b32 v16, -1, 0
	v_mbcnt_hi_u32_b32 v16, -1, v16
	v_and_b32_e32 v17, 64, v16
	v_add_u32_e32 v17, 64, v17
	s_mov_b64 s[4:5], 1
	; wave barrier
.LBB2_131:                              ; =>This Inner Loop Header: Depth=1
	v_xor_b32_e32 v18, s4, v16
	v_cmp_lt_i32_e32 vcc, v18, v17
	v_cndmask_b32_e32 v18, v16, v18, vcc
	v_lshlrev_b32_e32 v33, 2, v18
	ds_bpermute_b32 v18, v33, v14
	ds_bpermute_b32 v19, v33, v15
	;; [unrolled: 1-line block ×16, first 2 shown]
	s_waitcnt lgkmcnt(14)
	v_add_f64 v[14:15], v[14:15], v[18:19]
	s_waitcnt lgkmcnt(12)
	v_add_f64 v[10:11], v[10:11], v[20:21]
	;; [unrolled: 2-line block ×8, first 2 shown]
	v_cmp_gt_u64_e64 s[8:9], s[4:5], 31
	s_lshl_b64 s[6:7], s[4:5], 1
	s_mov_b64 s[4:5], s[6:7]
	s_and_b64 vcc, exec, s[8:9]
	s_cbranch_vccz .LBB2_131
; %bb.132:
	v_and_b32_e32 v16, 63, v57
	v_mov_b32_e32 v17, 0
	v_cmp_eq_u64_e32 vcc, 0, v[16:17]
	s_and_saveexec_b64 s[4:5], vcc
	s_cbranch_execz .LBB2_134
; %bb.133:
	ds_write2_b64 v17, v[0:1], v[4:5] offset1:2
	ds_write2_b64 v17, v[6:7], v[12:13] offset0:4 offset1:6
	ds_write2_b64 v17, v[14:15], v[10:11] offset0:8 offset1:10
	;; [unrolled: 1-line block ×3, first 2 shown]
.LBB2_134:
	s_or_b64 exec, exec, s[4:5]
	v_cmp_gt_u64_e32 vcc, 8, v[16:17]
	s_waitcnt lgkmcnt(0)
	; wave barrier
	s_and_b64 exec, exec, vcc
	s_cbranch_execz .LBB2_136
; %bb.135:
	v_mov_b32_e32 v0, s93
	v_add_co_u32_e32 v2, vcc, s92, v55
	v_addc_co_u32_e32 v3, vcc, v0, v56, vcc
	v_lshlrev_b32_e32 v0, 4, v16
	ds_read_b64 v[0:1], v0
	v_lshlrev_b32_e32 v4, 3, v16
	v_add_co_u32_e32 v2, vcc, v2, v4
	v_addc_co_u32_e32 v3, vcc, 0, v3, vcc
	s_waitcnt lgkmcnt(0)
	global_store_dwordx2 v[2:3], v[0:1], off
.LBB2_136:
	s_endpgm
	.section	.rodata,"a",@progbits
	.p2align	6, 0x0
	.amdhsa_kernel _ZN8rajaperf17lambda_hip_forallILm64EZNS_4apps12INTSC_HEXHEX17runHipVariantImplILm64EEEvNS_9VariantIDEEUllE_EEvllT0_
		.amdhsa_group_segment_fixed_size 128
		.amdhsa_private_segment_fixed_size 112
		.amdhsa_kernarg_size 48
		.amdhsa_user_sgpr_count 6
		.amdhsa_user_sgpr_private_segment_buffer 1
		.amdhsa_user_sgpr_dispatch_ptr 0
		.amdhsa_user_sgpr_queue_ptr 0
		.amdhsa_user_sgpr_kernarg_segment_ptr 1
		.amdhsa_user_sgpr_dispatch_id 0
		.amdhsa_user_sgpr_flat_scratch_init 0
		.amdhsa_user_sgpr_private_segment_size 0
		.amdhsa_uses_dynamic_stack 0
		.amdhsa_system_sgpr_private_segment_wavefront_offset 1
		.amdhsa_system_sgpr_workgroup_id_x 1
		.amdhsa_system_sgpr_workgroup_id_y 0
		.amdhsa_system_sgpr_workgroup_id_z 0
		.amdhsa_system_sgpr_workgroup_info 0
		.amdhsa_system_vgpr_workitem_id 0
		.amdhsa_next_free_vgpr 157
		.amdhsa_next_free_sgpr 100
		.amdhsa_reserve_vcc 1
		.amdhsa_reserve_flat_scratch 0
		.amdhsa_float_round_mode_32 0
		.amdhsa_float_round_mode_16_64 0
		.amdhsa_float_denorm_mode_32 3
		.amdhsa_float_denorm_mode_16_64 3
		.amdhsa_dx10_clamp 1
		.amdhsa_ieee_mode 1
		.amdhsa_fp16_overflow 0
		.amdhsa_exception_fp_ieee_invalid_op 0
		.amdhsa_exception_fp_denorm_src 0
		.amdhsa_exception_fp_ieee_div_zero 0
		.amdhsa_exception_fp_ieee_overflow 0
		.amdhsa_exception_fp_ieee_underflow 0
		.amdhsa_exception_fp_ieee_inexact 0
		.amdhsa_exception_int_div_zero 0
	.end_amdhsa_kernel
	.section	.text._ZN8rajaperf17lambda_hip_forallILm64EZNS_4apps12INTSC_HEXHEX17runHipVariantImplILm64EEEvNS_9VariantIDEEUllE_EEvllT0_,"axG",@progbits,_ZN8rajaperf17lambda_hip_forallILm64EZNS_4apps12INTSC_HEXHEX17runHipVariantImplILm64EEEvNS_9VariantIDEEUllE_EEvllT0_,comdat
.Lfunc_end2:
	.size	_ZN8rajaperf17lambda_hip_forallILm64EZNS_4apps12INTSC_HEXHEX17runHipVariantImplILm64EEEvNS_9VariantIDEEUllE_EEvllT0_, .Lfunc_end2-_ZN8rajaperf17lambda_hip_forallILm64EZNS_4apps12INTSC_HEXHEX17runHipVariantImplILm64EEEvNS_9VariantIDEEUllE_EEvllT0_
                                        ; -- End function
	.set _ZN8rajaperf17lambda_hip_forallILm64EZNS_4apps12INTSC_HEXHEX17runHipVariantImplILm64EEEvNS_9VariantIDEEUllE_EEvllT0_.num_vgpr, 157
	.set _ZN8rajaperf17lambda_hip_forallILm64EZNS_4apps12INTSC_HEXHEX17runHipVariantImplILm64EEEvNS_9VariantIDEEUllE_EEvllT0_.num_agpr, 0
	.set _ZN8rajaperf17lambda_hip_forallILm64EZNS_4apps12INTSC_HEXHEX17runHipVariantImplILm64EEEvNS_9VariantIDEEUllE_EEvllT0_.numbered_sgpr, 100
	.set _ZN8rajaperf17lambda_hip_forallILm64EZNS_4apps12INTSC_HEXHEX17runHipVariantImplILm64EEEvNS_9VariantIDEEUllE_EEvllT0_.num_named_barrier, 0
	.set _ZN8rajaperf17lambda_hip_forallILm64EZNS_4apps12INTSC_HEXHEX17runHipVariantImplILm64EEEvNS_9VariantIDEEUllE_EEvllT0_.private_seg_size, 112
	.set _ZN8rajaperf17lambda_hip_forallILm64EZNS_4apps12INTSC_HEXHEX17runHipVariantImplILm64EEEvNS_9VariantIDEEUllE_EEvllT0_.uses_vcc, 1
	.set _ZN8rajaperf17lambda_hip_forallILm64EZNS_4apps12INTSC_HEXHEX17runHipVariantImplILm64EEEvNS_9VariantIDEEUllE_EEvllT0_.uses_flat_scratch, 0
	.set _ZN8rajaperf17lambda_hip_forallILm64EZNS_4apps12INTSC_HEXHEX17runHipVariantImplILm64EEEvNS_9VariantIDEEUllE_EEvllT0_.has_dyn_sized_stack, 0
	.set _ZN8rajaperf17lambda_hip_forallILm64EZNS_4apps12INTSC_HEXHEX17runHipVariantImplILm64EEEvNS_9VariantIDEEUllE_EEvllT0_.has_recursion, 0
	.set _ZN8rajaperf17lambda_hip_forallILm64EZNS_4apps12INTSC_HEXHEX17runHipVariantImplILm64EEEvNS_9VariantIDEEUllE_EEvllT0_.has_indirect_call, 0
	.section	.AMDGPU.csdata,"",@progbits
; Kernel info:
; codeLenInByte = 36520
; TotalNumSgprs: 104
; NumVgprs: 157
; ScratchSize: 112
; MemoryBound: 0
; FloatMode: 240
; IeeeMode: 1
; LDSByteSize: 128 bytes/workgroup (compile time only)
; SGPRBlocks: 12
; VGPRBlocks: 39
; NumSGPRsForWavesPerEU: 104
; NumVGPRsForWavesPerEU: 157
; Occupancy: 1
; WaveLimiterHint : 0
; COMPUTE_PGM_RSRC2:SCRATCH_EN: 1
; COMPUTE_PGM_RSRC2:USER_SGPR: 6
; COMPUTE_PGM_RSRC2:TRAP_HANDLER: 0
; COMPUTE_PGM_RSRC2:TGID_X_EN: 1
; COMPUTE_PGM_RSRC2:TGID_Y_EN: 0
; COMPUTE_PGM_RSRC2:TGID_Z_EN: 0
; COMPUTE_PGM_RSRC2:TIDIG_COMP_CNT: 0
	.section	.text._ZN8rajaperf17lambda_hip_forallILm64EZNS_4apps12INTSC_HEXHEX17runHipVariantImplILm64EEEvNS_9VariantIDEEUllE0_EEvllT0_,"axG",@progbits,_ZN8rajaperf17lambda_hip_forallILm64EZNS_4apps12INTSC_HEXHEX17runHipVariantImplILm64EEEvNS_9VariantIDEEUllE0_EEvllT0_,comdat
	.protected	_ZN8rajaperf17lambda_hip_forallILm64EZNS_4apps12INTSC_HEXHEX17runHipVariantImplILm64EEEvNS_9VariantIDEEUllE0_EEvllT0_ ; -- Begin function _ZN8rajaperf17lambda_hip_forallILm64EZNS_4apps12INTSC_HEXHEX17runHipVariantImplILm64EEEvNS_9VariantIDEEUllE0_EEvllT0_
	.globl	_ZN8rajaperf17lambda_hip_forallILm64EZNS_4apps12INTSC_HEXHEX17runHipVariantImplILm64EEEvNS_9VariantIDEEUllE0_EEvllT0_
	.p2align	8
	.type	_ZN8rajaperf17lambda_hip_forallILm64EZNS_4apps12INTSC_HEXHEX17runHipVariantImplILm64EEEvNS_9VariantIDEEUllE0_EEvllT0_,@function
_ZN8rajaperf17lambda_hip_forallILm64EZNS_4apps12INTSC_HEXHEX17runHipVariantImplILm64EEEvNS_9VariantIDEEUllE0_EEvllT0_: ; @_ZN8rajaperf17lambda_hip_forallILm64EZNS_4apps12INTSC_HEXHEX17runHipVariantImplILm64EEEvNS_9VariantIDEEUllE0_EEvllT0_
; %bb.0:
	s_load_dwordx4 s[0:3], s[4:5], 0x0
	s_mov_b32 s7, 0
	s_lshl_b64 s[6:7], s[6:7], 6
	s_waitcnt lgkmcnt(0)
	s_add_u32 s0, s0, s6
	s_addc_u32 s1, s1, s7
	v_mov_b32_e32 v1, s1
	v_add_co_u32_e32 v2, vcc, s0, v0
	v_addc_co_u32_e32 v3, vcc, 0, v1, vcc
	v_cmp_gt_i64_e32 vcc, s[2:3], v[2:3]
	s_and_saveexec_b64 s[0:1], vcc
	s_cbranch_execz .LBB3_17
; %bb.1:
	s_load_dwordx4 s[8:11], s[4:5], 0x10
	s_load_dwordx2 s[0:1], s[4:5], 0x20
	s_movk_i32 s4, 0x240
	v_lshlrev_b64 v[6:7], 8, v[2:3]
	v_lshlrev_b64 v[4:5], 3, v[2:3]
	s_waitcnt lgkmcnt(0)
	v_mov_b32_e32 v0, s10
	v_mov_b32_e32 v1, s11
	v_mad_u64_u32 v[0:1], s[2:3], v2, s4, v[0:1]
	v_mov_b32_e32 v10, s9
	v_mad_u64_u32 v[8:9], s[2:3], v3, s4, v[1:2]
	v_add_co_u32_e32 v2, vcc, s8, v6
	v_addc_co_u32_e32 v3, vcc, v10, v7, vcc
	v_cmp_gt_u64_e32 vcc, s[0:1], v[4:5]
	v_mov_b32_e32 v1, v8
	s_and_saveexec_b64 s[2:3], vcc
	s_cbranch_execz .LBB3_3
; %bb.2:
	global_load_dwordx2 v[6:7], v[0:1], off
	global_load_dwordx2 v[8:9], v[0:1], off offset:64
	s_waitcnt vmcnt(0)
	v_add_f64 v[6:7], v[6:7], v[8:9]
	global_store_dwordx2 v[2:3], v[6:7], off
	global_load_dwordx2 v[6:7], v[0:1], off offset:8
	s_nop 0
	global_load_dwordx2 v[8:9], v[0:1], off offset:72
	s_waitcnt vmcnt(0)
	v_add_f64 v[6:7], v[6:7], v[8:9]
	global_store_dwordx2 v[2:3], v[6:7], off offset:8
	global_load_dwordx2 v[6:7], v[0:1], off offset:16
	s_nop 0
	global_load_dwordx2 v[8:9], v[0:1], off offset:80
	s_waitcnt vmcnt(0)
	v_add_f64 v[6:7], v[6:7], v[8:9]
	global_store_dwordx2 v[2:3], v[6:7], off offset:16
	;; [unrolled: 6-line block ×3, first 2 shown]
.LBB3_3:
	s_or_b64 exec, exec, s[2:3]
	v_or_b32_e32 v6, 1, v4
	v_mov_b32_e32 v7, v5
	v_cmp_gt_u64_e32 vcc, s[0:1], v[6:7]
	s_and_saveexec_b64 s[2:3], vcc
	s_cbranch_execz .LBB3_5
; %bb.4:
	global_load_dwordx2 v[6:7], v[0:1], off offset:96
	global_load_dwordx2 v[8:9], v[0:1], off offset:128
	s_waitcnt vmcnt(0)
	v_add_f64 v[6:7], v[6:7], v[8:9]
	global_store_dwordx2 v[2:3], v[6:7], off offset:32
	global_load_dwordx2 v[6:7], v[0:1], off offset:104
	s_nop 0
	global_load_dwordx2 v[8:9], v[0:1], off offset:136
	s_waitcnt vmcnt(0)
	v_add_f64 v[6:7], v[6:7], v[8:9]
	global_store_dwordx2 v[2:3], v[6:7], off offset:40
	global_load_dwordx2 v[6:7], v[0:1], off offset:112
	s_nop 0
	global_load_dwordx2 v[8:9], v[0:1], off offset:144
	s_waitcnt vmcnt(0)
	v_add_f64 v[6:7], v[6:7], v[8:9]
	global_store_dwordx2 v[2:3], v[6:7], off offset:48
	global_load_dwordx2 v[6:7], v[0:1], off offset:120
	s_nop 0
	global_load_dwordx2 v[8:9], v[0:1], off offset:152
	s_waitcnt vmcnt(0)
	v_add_f64 v[6:7], v[6:7], v[8:9]
	global_store_dwordx2 v[2:3], v[6:7], off offset:56
.LBB3_5:
	s_or_b64 exec, exec, s[2:3]
	v_or_b32_e32 v6, 2, v4
	v_mov_b32_e32 v7, v5
	v_cmp_gt_u64_e32 vcc, s[0:1], v[6:7]
	s_and_saveexec_b64 s[2:3], vcc
	s_cbranch_execz .LBB3_7
; %bb.6:
	global_load_dwordx2 v[6:7], v[0:1], off offset:160
	global_load_dwordx2 v[8:9], v[0:1], off offset:192
	s_waitcnt vmcnt(0)
	v_add_f64 v[6:7], v[6:7], v[8:9]
	global_store_dwordx2 v[2:3], v[6:7], off offset:64
	global_load_dwordx2 v[6:7], v[0:1], off offset:168
	s_nop 0
	global_load_dwordx2 v[8:9], v[0:1], off offset:200
	s_waitcnt vmcnt(0)
	v_add_f64 v[6:7], v[6:7], v[8:9]
	global_store_dwordx2 v[2:3], v[6:7], off offset:72
	global_load_dwordx2 v[6:7], v[0:1], off offset:176
	s_nop 0
	global_load_dwordx2 v[8:9], v[0:1], off offset:208
	s_waitcnt vmcnt(0)
	v_add_f64 v[6:7], v[6:7], v[8:9]
	global_store_dwordx2 v[2:3], v[6:7], off offset:80
	global_load_dwordx2 v[6:7], v[0:1], off offset:184
	s_nop 0
	global_load_dwordx2 v[8:9], v[0:1], off offset:216
	s_waitcnt vmcnt(0)
	v_add_f64 v[6:7], v[6:7], v[8:9]
	global_store_dwordx2 v[2:3], v[6:7], off offset:88
.LBB3_7:
	;; [unrolled: 31-line block ×6, first 2 shown]
	s_or_b64 exec, exec, s[2:3]
	v_or_b32_e32 v4, 7, v4
	v_cmp_gt_u64_e32 vcc, s[0:1], v[4:5]
	s_and_b64 exec, exec, vcc
	s_cbranch_execz .LBB3_17
; %bb.16:
	global_load_dwordx2 v[4:5], v[0:1], off offset:480
	global_load_dwordx2 v[6:7], v[0:1], off offset:512
	s_waitcnt vmcnt(0)
	v_add_f64 v[4:5], v[4:5], v[6:7]
	global_store_dwordx2 v[2:3], v[4:5], off offset:224
	global_load_dwordx2 v[4:5], v[0:1], off offset:488
	s_nop 0
	global_load_dwordx2 v[6:7], v[0:1], off offset:520
	s_waitcnt vmcnt(0)
	v_add_f64 v[4:5], v[4:5], v[6:7]
	global_store_dwordx2 v[2:3], v[4:5], off offset:232
	global_load_dwordx2 v[4:5], v[0:1], off offset:496
	s_nop 0
	;; [unrolled: 6-line block ×3, first 2 shown]
	global_load_dwordx2 v[6:7], v[0:1], off offset:536
	s_waitcnt vmcnt(0)
	v_add_f64 v[0:1], v[4:5], v[6:7]
	global_store_dwordx2 v[2:3], v[0:1], off offset:248
.LBB3_17:
	s_endpgm
	.section	.rodata,"a",@progbits
	.p2align	6, 0x0
	.amdhsa_kernel _ZN8rajaperf17lambda_hip_forallILm64EZNS_4apps12INTSC_HEXHEX17runHipVariantImplILm64EEEvNS_9VariantIDEEUllE0_EEvllT0_
		.amdhsa_group_segment_fixed_size 0
		.amdhsa_private_segment_fixed_size 0
		.amdhsa_kernarg_size 40
		.amdhsa_user_sgpr_count 6
		.amdhsa_user_sgpr_private_segment_buffer 1
		.amdhsa_user_sgpr_dispatch_ptr 0
		.amdhsa_user_sgpr_queue_ptr 0
		.amdhsa_user_sgpr_kernarg_segment_ptr 1
		.amdhsa_user_sgpr_dispatch_id 0
		.amdhsa_user_sgpr_flat_scratch_init 0
		.amdhsa_user_sgpr_private_segment_size 0
		.amdhsa_uses_dynamic_stack 0
		.amdhsa_system_sgpr_private_segment_wavefront_offset 0
		.amdhsa_system_sgpr_workgroup_id_x 1
		.amdhsa_system_sgpr_workgroup_id_y 0
		.amdhsa_system_sgpr_workgroup_id_z 0
		.amdhsa_system_sgpr_workgroup_info 0
		.amdhsa_system_vgpr_workitem_id 0
		.amdhsa_next_free_vgpr 11
		.amdhsa_next_free_sgpr 12
		.amdhsa_reserve_vcc 1
		.amdhsa_reserve_flat_scratch 0
		.amdhsa_float_round_mode_32 0
		.amdhsa_float_round_mode_16_64 0
		.amdhsa_float_denorm_mode_32 3
		.amdhsa_float_denorm_mode_16_64 3
		.amdhsa_dx10_clamp 1
		.amdhsa_ieee_mode 1
		.amdhsa_fp16_overflow 0
		.amdhsa_exception_fp_ieee_invalid_op 0
		.amdhsa_exception_fp_denorm_src 0
		.amdhsa_exception_fp_ieee_div_zero 0
		.amdhsa_exception_fp_ieee_overflow 0
		.amdhsa_exception_fp_ieee_underflow 0
		.amdhsa_exception_fp_ieee_inexact 0
		.amdhsa_exception_int_div_zero 0
	.end_amdhsa_kernel
	.section	.text._ZN8rajaperf17lambda_hip_forallILm64EZNS_4apps12INTSC_HEXHEX17runHipVariantImplILm64EEEvNS_9VariantIDEEUllE0_EEvllT0_,"axG",@progbits,_ZN8rajaperf17lambda_hip_forallILm64EZNS_4apps12INTSC_HEXHEX17runHipVariantImplILm64EEEvNS_9VariantIDEEUllE0_EEvllT0_,comdat
.Lfunc_end3:
	.size	_ZN8rajaperf17lambda_hip_forallILm64EZNS_4apps12INTSC_HEXHEX17runHipVariantImplILm64EEEvNS_9VariantIDEEUllE0_EEvllT0_, .Lfunc_end3-_ZN8rajaperf17lambda_hip_forallILm64EZNS_4apps12INTSC_HEXHEX17runHipVariantImplILm64EEEvNS_9VariantIDEEUllE0_EEvllT0_
                                        ; -- End function
	.set _ZN8rajaperf17lambda_hip_forallILm64EZNS_4apps12INTSC_HEXHEX17runHipVariantImplILm64EEEvNS_9VariantIDEEUllE0_EEvllT0_.num_vgpr, 11
	.set _ZN8rajaperf17lambda_hip_forallILm64EZNS_4apps12INTSC_HEXHEX17runHipVariantImplILm64EEEvNS_9VariantIDEEUllE0_EEvllT0_.num_agpr, 0
	.set _ZN8rajaperf17lambda_hip_forallILm64EZNS_4apps12INTSC_HEXHEX17runHipVariantImplILm64EEEvNS_9VariantIDEEUllE0_EEvllT0_.numbered_sgpr, 12
	.set _ZN8rajaperf17lambda_hip_forallILm64EZNS_4apps12INTSC_HEXHEX17runHipVariantImplILm64EEEvNS_9VariantIDEEUllE0_EEvllT0_.num_named_barrier, 0
	.set _ZN8rajaperf17lambda_hip_forallILm64EZNS_4apps12INTSC_HEXHEX17runHipVariantImplILm64EEEvNS_9VariantIDEEUllE0_EEvllT0_.private_seg_size, 0
	.set _ZN8rajaperf17lambda_hip_forallILm64EZNS_4apps12INTSC_HEXHEX17runHipVariantImplILm64EEEvNS_9VariantIDEEUllE0_EEvllT0_.uses_vcc, 1
	.set _ZN8rajaperf17lambda_hip_forallILm64EZNS_4apps12INTSC_HEXHEX17runHipVariantImplILm64EEEvNS_9VariantIDEEUllE0_EEvllT0_.uses_flat_scratch, 0
	.set _ZN8rajaperf17lambda_hip_forallILm64EZNS_4apps12INTSC_HEXHEX17runHipVariantImplILm64EEEvNS_9VariantIDEEUllE0_EEvllT0_.has_dyn_sized_stack, 0
	.set _ZN8rajaperf17lambda_hip_forallILm64EZNS_4apps12INTSC_HEXHEX17runHipVariantImplILm64EEEvNS_9VariantIDEEUllE0_EEvllT0_.has_recursion, 0
	.set _ZN8rajaperf17lambda_hip_forallILm64EZNS_4apps12INTSC_HEXHEX17runHipVariantImplILm64EEEvNS_9VariantIDEEUllE0_EEvllT0_.has_indirect_call, 0
	.section	.AMDGPU.csdata,"",@progbits
; Kernel info:
; codeLenInByte = 1560
; TotalNumSgprs: 16
; NumVgprs: 11
; ScratchSize: 0
; MemoryBound: 1
; FloatMode: 240
; IeeeMode: 1
; LDSByteSize: 0 bytes/workgroup (compile time only)
; SGPRBlocks: 1
; VGPRBlocks: 2
; NumSGPRsForWavesPerEU: 16
; NumVGPRsForWavesPerEU: 11
; Occupancy: 10
; WaveLimiterHint : 1
; COMPUTE_PGM_RSRC2:SCRATCH_EN: 0
; COMPUTE_PGM_RSRC2:USER_SGPR: 6
; COMPUTE_PGM_RSRC2:TRAP_HANDLER: 0
; COMPUTE_PGM_RSRC2:TGID_X_EN: 1
; COMPUTE_PGM_RSRC2:TGID_Y_EN: 0
; COMPUTE_PGM_RSRC2:TGID_Z_EN: 0
; COMPUTE_PGM_RSRC2:TIDIG_COMP_CNT: 0
	.section	.text._ZN4RAJA6policy3hip4impl18forallp_hip_kernelINS1_8hip_execINS_17iteration_mapping6DirectENS_3hip11IndexGlobalILNS_9named_dimE0ELi64ELi0EEENS7_40AvoidDeviceMaxThreadOccupancyConcretizerINS7_34FractionOffsetOccupancyConcretizerINS_8FractionImLm1ELm1EEELln1EEEEELb1EEENS_9Iterators16numeric_iteratorIllPlEEZN8rajaperf4apps12INTSC_HEXHEX17runHipVariantImplILm64EEEvNSM_9VariantIDEEUllE1_lNS_4expt15ForallParamPackIJEEES6_SA_TnNSt9enable_ifIXaasr3std10is_base_ofINS5_10DirectBaseET4_EE5valuegtsrT5_10block_sizeLi0EEmE4typeELm64EEEvT1_T0_T2_T3_,"axG",@progbits,_ZN4RAJA6policy3hip4impl18forallp_hip_kernelINS1_8hip_execINS_17iteration_mapping6DirectENS_3hip11IndexGlobalILNS_9named_dimE0ELi64ELi0EEENS7_40AvoidDeviceMaxThreadOccupancyConcretizerINS7_34FractionOffsetOccupancyConcretizerINS_8FractionImLm1ELm1EEELln1EEEEELb1EEENS_9Iterators16numeric_iteratorIllPlEEZN8rajaperf4apps12INTSC_HEXHEX17runHipVariantImplILm64EEEvNSM_9VariantIDEEUllE1_lNS_4expt15ForallParamPackIJEEES6_SA_TnNSt9enable_ifIXaasr3std10is_base_ofINS5_10DirectBaseET4_EE5valuegtsrT5_10block_sizeLi0EEmE4typeELm64EEEvT1_T0_T2_T3_,comdat
	.protected	_ZN4RAJA6policy3hip4impl18forallp_hip_kernelINS1_8hip_execINS_17iteration_mapping6DirectENS_3hip11IndexGlobalILNS_9named_dimE0ELi64ELi0EEENS7_40AvoidDeviceMaxThreadOccupancyConcretizerINS7_34FractionOffsetOccupancyConcretizerINS_8FractionImLm1ELm1EEELln1EEEEELb1EEENS_9Iterators16numeric_iteratorIllPlEEZN8rajaperf4apps12INTSC_HEXHEX17runHipVariantImplILm64EEEvNSM_9VariantIDEEUllE1_lNS_4expt15ForallParamPackIJEEES6_SA_TnNSt9enable_ifIXaasr3std10is_base_ofINS5_10DirectBaseET4_EE5valuegtsrT5_10block_sizeLi0EEmE4typeELm64EEEvT1_T0_T2_T3_ ; -- Begin function _ZN4RAJA6policy3hip4impl18forallp_hip_kernelINS1_8hip_execINS_17iteration_mapping6DirectENS_3hip11IndexGlobalILNS_9named_dimE0ELi64ELi0EEENS7_40AvoidDeviceMaxThreadOccupancyConcretizerINS7_34FractionOffsetOccupancyConcretizerINS_8FractionImLm1ELm1EEELln1EEEEELb1EEENS_9Iterators16numeric_iteratorIllPlEEZN8rajaperf4apps12INTSC_HEXHEX17runHipVariantImplILm64EEEvNSM_9VariantIDEEUllE1_lNS_4expt15ForallParamPackIJEEES6_SA_TnNSt9enable_ifIXaasr3std10is_base_ofINS5_10DirectBaseET4_EE5valuegtsrT5_10block_sizeLi0EEmE4typeELm64EEEvT1_T0_T2_T3_
	.globl	_ZN4RAJA6policy3hip4impl18forallp_hip_kernelINS1_8hip_execINS_17iteration_mapping6DirectENS_3hip11IndexGlobalILNS_9named_dimE0ELi64ELi0EEENS7_40AvoidDeviceMaxThreadOccupancyConcretizerINS7_34FractionOffsetOccupancyConcretizerINS_8FractionImLm1ELm1EEELln1EEEEELb1EEENS_9Iterators16numeric_iteratorIllPlEEZN8rajaperf4apps12INTSC_HEXHEX17runHipVariantImplILm64EEEvNSM_9VariantIDEEUllE1_lNS_4expt15ForallParamPackIJEEES6_SA_TnNSt9enable_ifIXaasr3std10is_base_ofINS5_10DirectBaseET4_EE5valuegtsrT5_10block_sizeLi0EEmE4typeELm64EEEvT1_T0_T2_T3_
	.p2align	8
	.type	_ZN4RAJA6policy3hip4impl18forallp_hip_kernelINS1_8hip_execINS_17iteration_mapping6DirectENS_3hip11IndexGlobalILNS_9named_dimE0ELi64ELi0EEENS7_40AvoidDeviceMaxThreadOccupancyConcretizerINS7_34FractionOffsetOccupancyConcretizerINS_8FractionImLm1ELm1EEELln1EEEEELb1EEENS_9Iterators16numeric_iteratorIllPlEEZN8rajaperf4apps12INTSC_HEXHEX17runHipVariantImplILm64EEEvNSM_9VariantIDEEUllE1_lNS_4expt15ForallParamPackIJEEES6_SA_TnNSt9enable_ifIXaasr3std10is_base_ofINS5_10DirectBaseET4_EE5valuegtsrT5_10block_sizeLi0EEmE4typeELm64EEEvT1_T0_T2_T3_,@function
_ZN4RAJA6policy3hip4impl18forallp_hip_kernelINS1_8hip_execINS_17iteration_mapping6DirectENS_3hip11IndexGlobalILNS_9named_dimE0ELi64ELi0EEENS7_40AvoidDeviceMaxThreadOccupancyConcretizerINS7_34FractionOffsetOccupancyConcretizerINS_8FractionImLm1ELm1EEELln1EEEEELb1EEENS_9Iterators16numeric_iteratorIllPlEEZN8rajaperf4apps12INTSC_HEXHEX17runHipVariantImplILm64EEEvNSM_9VariantIDEEUllE1_lNS_4expt15ForallParamPackIJEEES6_SA_TnNSt9enable_ifIXaasr3std10is_base_ofINS5_10DirectBaseET4_EE5valuegtsrT5_10block_sizeLi0EEmE4typeELm64EEEvT1_T0_T2_T3_: ; @_ZN4RAJA6policy3hip4impl18forallp_hip_kernelINS1_8hip_execINS_17iteration_mapping6DirectENS_3hip11IndexGlobalILNS_9named_dimE0ELi64ELi0EEENS7_40AvoidDeviceMaxThreadOccupancyConcretizerINS7_34FractionOffsetOccupancyConcretizerINS_8FractionImLm1ELm1EEELln1EEEEELb1EEENS_9Iterators16numeric_iteratorIllPlEEZN8rajaperf4apps12INTSC_HEXHEX17runHipVariantImplILm64EEEvNSM_9VariantIDEEUllE1_lNS_4expt15ForallParamPackIJEEES6_SA_TnNSt9enable_ifIXaasr3std10is_base_ofINS5_10DirectBaseET4_EE5valuegtsrT5_10block_sizeLi0EEmE4typeELm64EEEvT1_T0_T2_T3_
; %bb.0:
	s_load_dwordx8 s[8:15], s[4:5], 0x10
	s_add_u32 s0, s0, s7
	s_mov_b32 s7, 0
	s_addc_u32 s1, s1, 0
	s_lshl_b64 s[6:7], s[6:7], 6
	v_or_b32_e32 v0, s6, v0
	v_mov_b32_e32 v1, s7
	s_waitcnt lgkmcnt(0)
	v_cmp_gt_i64_e32 vcc, s[14:15], v[0:1]
	s_and_saveexec_b64 s[6:7], vcc
	s_cbranch_execz .LBB4_136
; %bb.1:
	v_add_co_u32_e32 v108, vcc, s12, v0
	s_mov_b32 s12, 0x38e38e39
	v_mul_hi_u32 v0, v108, s12
	v_mov_b32_e32 v2, s13
	v_addc_co_u32_e32 v109, vcc, v1, v2, vcc
	v_mov_b32_e32 v1, 0
	v_mad_u64_u32 v[2:3], s[6:7], v109, s12, v[0:1]
	s_mov_b32 s13, 0xe38e38e
	s_load_dwordx4 s[92:95], s[4:5], 0x0
	v_mov_b32_e32 v0, v2
	v_mad_u64_u32 v[4:5], s[6:7], v108, s13, v[0:1]
	v_mov_b32_e32 v20, 0
	v_mov_b32_e32 v22, 0
	v_add_co_u32_e32 v2, vcc, v3, v5
	v_addc_co_u32_e64 v3, s[6:7], 0, 0, vcc
	v_mad_u64_u32 v[3:4], s[6:7], v109, s13, v[2:3]
	v_ashrrev_i32_e32 v2, 31, v109
	v_mul_lo_u32 v0, v2, s13
	v_mad_u64_u32 v[3:4], s[6:7], v2, s12, v[3:4]
	v_mul_lo_u32 v5, v2, s12
	v_mov_b32_e32 v18, 0
	v_mov_b32_e32 v24, 0
	;; [unrolled: 1-line block ×3, first 2 shown]
	v_add3_u32 v4, v5, v4, v0
	v_ashrrev_i64 v[5:6], 2, v[3:4]
	v_lshrrev_b32_e32 v0, 31, v4
	v_add_co_u32_e32 v56, vcc, v5, v0
	v_addc_co_u32_e32 v57, vcc, 0, v6, vcc
	s_waitcnt lgkmcnt(0)
	v_cmp_gt_u64_e32 vcc, s[94:95], v[56:57]
	v_mov_b32_e32 v23, 0
	v_mov_b32_e32 v19, 0
	;; [unrolled: 1-line block ×3, first 2 shown]
	s_and_saveexec_b64 s[94:95], vcc
	s_cbranch_execz .LBB4_128
; %bb.2:
	s_mov_b32 s6, 0xaaaaaaab
	v_mul_hi_u32 v0, v108, s6
	s_mov_b32 s7, 0x2aaaaaaa
	v_mad_u64_u32 v[3:4], s[4:5], v109, s6, v[0:1]
	v_mov_b32_e32 v0, v3
	v_mad_u64_u32 v[5:6], s[4:5], v108, s7, v[0:1]
	v_mul_lo_u32 v0, v2, s7
	v_mul_lo_u32 v5, v2, s6
	v_add_co_u32_e32 v3, vcc, v4, v6
	v_addc_co_u32_e64 v4, s[4:5], 0, 0, vcc
	v_mad_u64_u32 v[3:4], s[4:5], v109, s7, v[3:4]
	v_mad_u64_u32 v[2:3], s[4:5], v2, s6, v[3:4]
	v_add3_u32 v0, v5, v3, v0
	v_lshrrev_b32_e32 v3, 31, v0
	v_add_co_u32_e32 v9, vcc, v2, v3
	v_addc_co_u32_e32 v8, vcc, 0, v0, vcc
	v_mul_hi_u32 v0, v9, s6
	v_mad_u64_u32 v[2:3], s[4:5], v8, s6, v[0:1]
	v_mov_b32_e32 v0, v2
	v_mad_u64_u32 v[0:1], s[4:5], v9, s7, v[0:1]
	v_ashrrev_i32_e32 v2, 31, v8
	v_mul_lo_u32 v4, v2, s6
	v_add_co_u32_e32 v0, vcc, v3, v1
	v_addc_co_u32_e64 v1, s[4:5], 0, 0, vcc
	v_mad_u64_u32 v[0:1], s[4:5], v8, s7, v[0:1]
	v_mul_lo_u32 v3, v2, s7
	v_mad_u64_u32 v[0:1], s[4:5], v2, s6, v[0:1]
	v_add3_u32 v1, v4, v1, v3
	v_ashrrev_i64 v[2:3], 1, v[0:1]
	v_lshrrev_b32_e32 v0, 31, v1
	v_add_co_u32_e32 v0, vcc, v2, v0
	v_mad_u64_u32 v[0:1], s[4:5], v0, 12, 0
	v_addc_co_u32_e32 v2, vcc, 0, v3, vcc
	v_mad_u64_u32 v[1:2], s[4:5], v2, 12, v[1:2]
	v_sub_co_u32_e32 v0, vcc, v9, v0
	v_subb_co_u32_e32 v1, vcc, v8, v1, vcc
	v_cmp_lt_i64_e32 vcc, 5, v[0:1]
	v_lshlrev_b64 v[6:7], 2, v[0:1]
                                        ; implicit-def: $vgpr2_vgpr3
	s_and_saveexec_b64 s[4:5], vcc
	s_xor_b64 s[4:5], exec, s[4:5]
; %bb.3:
	v_sub_co_u32_e32 v0, vcc, 12, v0
	v_subb_co_u32_e32 v1, vcc, 0, v1, vcc
	s_getpc_b64 s[6:7]
	s_add_u32 s6, s6, __const._ZN8rajaperf14hex_intsc_subzEPKdS1_iiRdS2_S2_S2_.cyc_nod@rel32@lo+48
	s_addc_u32 s7, s7, __const._ZN8rajaperf14hex_intsc_subzEPKdS1_iiRdS2_S2_S2_.cyc_nod@rel32@hi+56
	v_mov_b32_e32 v3, s7
	v_sub_co_u32_e32 v2, vcc, s6, v6
	v_subb_co_u32_e32 v3, vcc, v3, v7, vcc
                                        ; implicit-def: $vgpr6_vgpr7
; %bb.4:
	s_or_saveexec_b64 s[4:5], s[4:5]
	v_mov_b32_e32 v4, 7
	v_mov_b32_e32 v5, 0
	s_xor_b64 exec, exec, s[4:5]
; %bb.5:
	s_getpc_b64 s[6:7]
	s_add_u32 s6, s6, __const._ZN8rajaperf14hex_intsc_subzEPKdS1_iiRdS2_S2_S2_.cyc_nod@rel32@lo+8
	s_addc_u32 s7, s7, __const._ZN8rajaperf14hex_intsc_subzEPKdS1_iiRdS2_S2_S2_.cyc_nod@rel32@hi+16
	v_mov_b32_e32 v3, s7
	v_add_co_u32_e32 v2, vcc, s6, v6
	v_mov_b32_e32 v4, 0
	v_addc_co_u32_e32 v3, vcc, v3, v7, vcc
	v_mov_b32_e32 v5, 0
; %bb.6:
	s_or_b64 exec, exec, s[4:5]
	v_mad_u64_u32 v[5:6], s[4:5], v9, 6, 0
	s_getpc_b64 s[4:5]
	s_add_u32 s4, s4, __const._ZN8rajaperf14hex_intsc_subzEPKdS1_iiRdS2_S2_S2_.vert_cyc@rel32@lo+4
	s_addc_u32 s5, s5, __const._ZN8rajaperf14hex_intsc_subzEPKdS1_iiRdS2_S2_S2_.vert_cyc@rel32@hi+12
	v_mov_b32_e32 v9, s5
	v_mad_u64_u32 v[6:7], s[6:7], v8, 6, v[6:7]
	v_sub_co_u32_e32 v5, vcc, v108, v5
	v_subb_co_u32_e32 v6, vcc, v109, v6, vcc
	v_lshlrev_b64 v[6:7], 2, v[5:6]
	v_add_u16_e32 v5, 1, v5
	v_add_co_u32_e32 v6, vcc, s4, v6
	v_addc_co_u32_e32 v7, vcc, v9, v7, vcc
	global_load_dword v6, v[6:7], off
	v_mov_b32_e32 v7, 43
	v_mul_lo_u16_sdwa v7, sext(v5), v7 dst_sel:DWORD dst_unused:UNUSED_PAD src0_sel:BYTE_0 src1_sel:DWORD
	v_lshrrev_b16_e32 v8, 15, v7
	v_add_u16_sdwa v7, v7, v8 dst_sel:DWORD dst_unused:UNUSED_PAD src0_sel:BYTE_1 src1_sel:DWORD
	v_mul_lo_u16_e32 v7, 6, v7
	v_sub_u16_e32 v5, v5, v7
	v_bfe_i32 v7, v5, 0, 8
	v_ashrrev_i32_e32 v8, 31, v7
	v_lshlrev_b64 v[7:8], 2, v[7:8]
	s_movk_i32 s6, 0xc0
	v_add_co_u32_e32 v7, vcc, s4, v7
	v_addc_co_u32_e32 v8, vcc, v9, v8, vcc
	global_load_dword v5, v[7:8], off
	v_mov_b32_e32 v7, s10
	v_mov_b32_e32 v8, s11
	v_mul_lo_u32 v28, v57, s6
	v_mad_u64_u32 v[8:9], s[4:5], v56, s6, v[7:8]
	v_lshlrev_b64 v[0:1], 2, v[0:1]
	s_getpc_b64 s[4:5]
	s_add_u32 s4, s4, __const._ZN8rajaperf14hex_intsc_subzEPKdS1_iiRdS2_S2_S2_.cyc_nod@rel32@lo+4
	s_addc_u32 s5, s5, __const._ZN8rajaperf14hex_intsc_subzEPKdS1_iiRdS2_S2_S2_.cyc_nod@rel32@hi+12
	v_add_u32_e32 v9, v28, v9
	global_load_dwordx4 v[48:51], v[8:9], off offset:120
	global_load_dwordx4 v[52:55], v[8:9], off offset:56
	v_lshlrev_b32_e32 v4, 3, v4
	v_mov_b32_e32 v44, 6
	v_mov_b32_e32 v45, 7
	;; [unrolled: 1-line block ×4, first 2 shown]
	s_mov_b64 s[12:13], 0
	v_mov_b32_e32 v106, -1
	v_mov_b32_e32 v31, 0
	v_mov_b32_e32 v30, 0
	v_mov_b32_e32 v135, -1
	v_mov_b32_e32 v137, -1
	;; [unrolled: 1-line block ×3, first 2 shown]
                                        ; implicit-def: $sgpr38_sgpr39
	global_load_dwordx2 v[58:59], v[8:9], off
	s_waitcnt vmcnt(4)
	v_ashrrev_i32_e32 v7, 31, v6
	v_lshlrev_b64 v[6:7], 3, v[6:7]
	v_add_co_u32_e32 v10, vcc, v8, v6
	v_addc_co_u32_e32 v11, vcc, v9, v7, vcc
	global_load_dwordx2 v[12:13], v[10:11], off
	s_waitcnt vmcnt(4)
	v_ashrrev_i32_e32 v6, 31, v5
	v_lshlrev_b64 v[5:6], 3, v[5:6]
	v_add_co_u32_e32 v5, vcc, v8, v5
	v_addc_co_u32_e32 v6, vcc, v9, v6, vcc
	global_load_dwordx2 v[14:15], v[5:6], off offset:64
	global_load_dwordx2 v[16:17], v[5:6], off offset:128
	;; [unrolled: 1-line block ×3, first 2 shown]
	global_load_dwordx2 v[20:21], v[5:6], off
	global_load_dwordx2 v[22:23], v[10:11], off offset:128
	global_load_dwordx2 v[24:25], v[10:11], off offset:64
	global_load_dword v7, v[2:3], off
	v_mov_b32_e32 v2, s5
	v_add_co_u32_e32 v0, vcc, s4, v0
	v_addc_co_u32_e32 v1, vcc, v2, v1, vcc
	global_load_dword v5, v[0:1], off
	s_waitcnt vmcnt(10)
	v_add_f64 v[60:61], v[48:49], -v[54:55]
	s_waitcnt vmcnt(9)
	v_add_f64 v[52:53], v[52:53], -v[58:59]
	;; [unrolled: 2-line block ×3, first 2 shown]
	v_mov_b32_e32 v12, s8
	v_mov_b32_e32 v13, s9
	v_mul_f64 v[26:27], v[72:73], v[60:61]
	s_waitcnt vmcnt(7)
	v_add_f64 v[64:65], v[14:15], -v[54:55]
	s_waitcnt vmcnt(6)
	v_add_f64 v[66:67], v[16:17], -v[50:51]
	;; [unrolled: 2-line block ×6, first 2 shown]
	v_mov_b32_e32 v23, 5
	v_mul_f64 v[0:1], v[72:73], v[64:65]
	v_mul_f64 v[2:3], v[66:67], v[26:27]
	;; [unrolled: 1-line block ×5, first 2 shown]
	v_fma_f64 v[26:27], v[74:75], v[52:53], -v[26:27]
	v_fma_f64 v[10:11], v[0:1], v[62:63], -v[2:3]
	v_mul_f64 v[2:3], v[74:75], v[68:69]
	v_fma_f64 v[8:9], v[70:71], v[8:9], v[10:11]
	v_mad_u64_u32 v[10:11], s[4:5], v56, s6, v[12:13]
	s_mov_b32 s4, 0xe48e0530
	s_mov_b32 s5, 0x2b2bff2e
	v_add_u32_e32 v21, v28, v11
	v_mul_f64 v[11:12], v[74:75], v[52:53]
	v_add_co_u32_e32 v15, vcc, v10, v4
	v_fma_f64 v[13:14], -v[2:3], v[62:63], v[8:9]
	s_waitcnt vmcnt(1)
	v_ashrrev_i32_e32 v8, 31, v7
	v_lshlrev_b64 v[6:7], 3, v[7:8]
	v_addc_co_u32_e32 v16, vcc, 0, v21, vcc
	v_add_co_u32_e32 v8, vcc, v10, v6
	s_waitcnt vmcnt(0)
	v_ashrrev_i32_e32 v6, 31, v5
	v_fma_f64 v[11:12], v[66:67], v[11:12], v[13:14]
	v_lshlrev_b64 v[4:5], 3, v[5:6]
	v_addc_co_u32_e32 v9, vcc, v21, v7, vcc
	global_load_dwordx2 v[17:18], v[15:16], off offset:64
	global_load_dwordx2 v[19:20], v[15:16], off offset:128
	v_add_co_u32_e32 v4, vcc, v10, v4
	v_addc_co_u32_e32 v5, vcc, v21, v5, vcc
	v_fma_f64 v[76:77], -v[70:71], v[24:25], v[11:12]
	global_load_dwordx2 v[6:7], v[8:9], off offset:64
	global_load_dwordx2 v[12:13], v[8:9], off offset:128
	;; [unrolled: 1-line block ×3, first 2 shown]
	global_load_dwordx2 v[32:33], v[4:5], off
	global_load_dwordx2 v[34:35], v[15:16], off
	;; [unrolled: 1-line block ×3, first 2 shown]
	global_load_dwordx2 v[38:39], v[4:5], off offset:128
	v_mov_b32_e32 v14, 1
	v_mov_b32_e32 v15, 2
	;; [unrolled: 1-line block ×3, first 2 shown]
	v_fma_f64 v[28:29], v[76:77], v[76:77], s[4:5]
	buffer_store_dword v14, off, s[0:3], 0 offset:40
	buffer_store_dword v15, off, s[0:3], 0 offset:44
	;; [unrolled: 1-line block ×6, first 2 shown]
	v_mul_f64 v[44:45], v[68:69], v[62:63]
	v_fma_f64 v[24:25], v[68:69], v[60:61], -v[24:25]
	buffer_store_dword v78, off, s[0:3], 0 offset:68
	buffer_store_dword v79, off, s[0:3], 0 offset:84
	;; [unrolled: 1-line block ×4, first 2 shown]
	v_div_scale_f64 v[8:9], s[4:5], v[28:29], v[28:29], v[76:77]
	v_div_scale_f64 v[40:41], vcc, v[76:77], v[28:29], v[76:77]
	v_fma_f64 v[44:45], v[66:67], v[52:53], -v[44:45]
	v_rcp_f64_e32 v[4:5], v[8:9]
	v_fma_f64 v[10:11], -v[8:9], v[4:5], 1.0
	v_fma_f64 v[4:5], v[4:5], v[10:11], v[4:5]
	v_fma_f64 v[10:11], -v[8:9], v[4:5], 1.0
	v_fma_f64 v[42:43], v[4:5], v[10:11], v[4:5]
	s_waitcnt vmcnt(18)
	v_add_f64 v[10:11], v[17:18], -v[54:55]
	s_waitcnt vmcnt(17)
	v_add_f64 v[4:5], v[19:20], -v[50:51]
	v_mul_f64 v[18:19], v[70:71], v[52:53]
	v_mul_f64 v[46:47], v[40:41], v[42:43]
	s_waitcnt vmcnt(16)
	v_add_f64 v[14:15], v[6:7], -v[54:55]
	s_waitcnt vmcnt(14)
	v_add_f64 v[20:21], v[21:22], -v[54:55]
	v_add_f64 v[6:7], v[12:13], -v[50:51]
	s_waitcnt vmcnt(12)
	v_add_f64 v[16:17], v[34:35], -v[58:59]
	s_waitcnt vmcnt(11)
	v_add_f64 v[12:13], v[36:37], -v[58:59]
	v_mul_f64 v[34:35], v[74:75], v[62:63]
	v_fma_f64 v[36:37], v[72:73], v[62:63], -v[18:19]
	v_fma_f64 v[8:9], -v[8:9], v[46:47], v[40:41]
	v_fma_f64 v[40:41], v[64:65], v[62:63], -v[48:49]
	v_mul_f64 v[18:19], v[10:11], v[44:45]
	v_add_f64 v[22:23], v[32:33], -v[58:59]
	v_mul_f64 v[32:33], v[20:21], v[44:45]
	v_fma_f64 v[34:35], v[70:71], v[60:61], -v[34:35]
	v_div_fmas_f64 v[8:9], v[8:9], v[42:43], v[46:47]
	v_mul_f64 v[42:43], v[14:15], v[44:45]
	v_mul_f64 v[44:45], v[10:11], v[36:37]
	v_fma_f64 v[46:47], v[16:17], v[40:41], v[18:19]
	s_waitcnt vmcnt(10)
	v_add_f64 v[18:19], v[38:39], -v[50:51]
	v_mul_f64 v[38:39], v[20:21], v[36:37]
	v_fma_f64 v[32:33], v[22:23], v[40:41], v[32:33]
	v_mul_f64 v[36:37], v[14:15], v[36:37]
	v_fma_f64 v[40:41], v[12:13], v[40:41], v[42:43]
	v_fma_f64 v[42:43], v[16:17], v[34:35], v[44:45]
	;; [unrolled: 1-line block ×3, first 2 shown]
	v_div_fixup_f64 v[8:9], v[8:9], v[28:29], v[76:77]
	v_fma_f64 v[28:29], v[22:23], v[34:35], v[38:39]
	v_fma_f64 v[38:39], v[18:19], v[24:25], v[32:33]
	;; [unrolled: 1-line block ×5, first 2 shown]
	v_fma_f64 v[24:25], -v[44:45], v[8:9], 1.0
	v_fma_f64 v[28:29], v[18:19], v[26:27], v[28:29]
	v_fma_f64 v[42:43], -v[38:39], v[8:9], 1.0
	v_fma_f64 v[46:47], v[6:7], v[26:27], v[32:33]
	v_fma_f64 v[26:27], -v[36:37], v[8:9], 1.0
	v_mul_f64 v[32:33], v[44:45], v[8:9]
	v_mul_f64 v[34:35], v[38:39], v[8:9]
	;; [unrolled: 1-line block ×3, first 2 shown]
	v_fma_f64 v[104:105], -v[40:41], v[8:9], v[24:25]
	v_mul_f64 v[82:83], v[40:41], v[8:9]
	v_fma_f64 v[24:25], -v[28:29], v[8:9], v[42:43]
	v_mul_f64 v[78:79], v[28:29], v[8:9]
	v_fma_f64 v[26:27], -v[46:47], v[8:9], v[26:27]
	v_mul_f64 v[80:81], v[46:47], v[8:9]
	buffer_store_dword v105, off, s[0:3], 0 offset:4
	buffer_store_dword v104, off, s[0:3], 0
	buffer_store_dword v25, off, s[0:3], 0 offset:12
	buffer_store_dword v24, off, s[0:3], 0 offset:8
	;; [unrolled: 1-line block ×4, first 2 shown]
	v_mov_b32_e32 v28, v104
	v_mov_b32_e32 v29, v105
.LBB4_7:                                ; =>This Inner Loop Header: Depth=1
	v_lshl_add_u32 v38, v31, 2, v30
	buffer_load_dword v40, v38, s[0:3], 0 offen offset:40
	v_cmp_le_f64_e32 vcc, 0, v[28:29]
	v_cmp_gt_f64_e64 s[4:5], 0, v[28:29]
	v_mov_b32_e32 v107, v136
	s_waitcnt vmcnt(0)
	v_max_i32_e32 v41, 0, v40
	v_lshl_add_u32 v42, v41, 3, v30
	buffer_load_dword v38, v42, s[0:3], 0 offen
	buffer_load_dword v39, v42, s[0:3], 0 offen offset:4
	v_cmp_gt_i32_e64 s[6:7], 0, v40
	s_waitcnt vmcnt(0)
	v_cmp_gt_f64_e64 s[8:9], 0, v[38:39]
	v_cmp_le_f64_e64 s[10:11], 0, v[38:39]
	v_mov_b32_e32 v28, v38
	v_mov_b32_e32 v29, v39
	s_and_b64 vcc, vcc, s[8:9]
	s_and_b64 s[8:9], s[4:5], s[10:11]
	s_or_b64 s[12:13], s[6:7], s[12:13]
	s_andn2_b64 s[6:7], s[38:39], exec
	s_and_b64 s[4:5], s[4:5], exec
	v_cndmask_b32_e32 v137, v137, v41, vcc
	v_cndmask_b32_e64 v136, v107, v41, s[8:9]
	v_cndmask_b32_e32 v106, v106, v31, vcc
	v_cndmask_b32_e64 v135, v135, v31, s[8:9]
	v_mov_b32_e32 v31, v40
	s_or_b64 s[38:39], s[6:7], s[4:5]
	s_andn2_b64 exec, exec, s[12:13]
	s_cbranch_execnz .LBB4_7
; %bb.8:
	s_or_b64 exec, exec, s[12:13]
	v_mul_f64 v[28:29], v[72:73], v[66:67]
	v_mul_f64 v[30:31], v[70:71], v[64:65]
	v_add_f64 v[0:1], v[0:1], -v[2:3]
	v_mov_b32_e32 v38, 0
	v_mov_b32_e32 v39, v38
	;; [unrolled: 1-line block ×5, first 2 shown]
	v_fma_f64 v[2:3], v[70:71], v[68:69], -v[28:29]
	v_fma_f64 v[28:29], v[74:75], v[66:67], -v[30:31]
	v_mov_b32_e32 v43, v38
	v_mov_b32_e32 v44, v38
	;; [unrolled: 1-line block ×6, first 2 shown]
	v_mul_f64 v[10:11], v[10:11], v[2:3]
	v_mul_f64 v[20:21], v[20:21], v[2:3]
	;; [unrolled: 1-line block ×3, first 2 shown]
	v_mov_b32_e32 v49, v38
	v_mov_b32_e32 v90, v38
	;; [unrolled: 1-line block ×5, first 2 shown]
	v_fma_f64 v[10:11], v[16:17], v[28:29], v[10:11]
	v_fma_f64 v[14:15], v[22:23], v[28:29], v[20:21]
	;; [unrolled: 1-line block ×3, first 2 shown]
	v_mov_b32_e32 v117, v38
	v_mov_b32_e32 v110, v38
	;; [unrolled: 1-line block ×5, first 2 shown]
	v_fma_f64 v[4:5], v[4:5], v[0:1], v[10:11]
	v_fma_f64 v[10:11], v[18:19], v[0:1], v[14:15]
	;; [unrolled: 1-line block ×3, first 2 shown]
	v_mov_b32_e32 v112, v38
	v_mov_b32_e32 v115, v38
	;; [unrolled: 1-line block ×5, first 2 shown]
	v_mul_f64 v[88:89], v[4:5], v[8:9]
	v_mul_f64 v[86:87], v[10:11], v[8:9]
	;; [unrolled: 1-line block ×3, first 2 shown]
	v_fma_f64 v[98:99], -v[4:5], v[8:9], v[104:105]
	v_fma_f64 v[96:97], -v[10:11], v[8:9], v[24:25]
	;; [unrolled: 1-line block ×3, first 2 shown]
	v_mov_b32_e32 v0, v32
	v_mov_b32_e32 v22, v54
	v_mov_b32_e32 v23, v55
	v_mov_b32_e32 v102, v38
	v_mov_b32_e32 v103, v38
	v_mov_b32_e32 v133, v38
	v_mov_b32_e32 v129, v38
	v_mov_b32_e32 v132, v38
	v_mov_b32_e32 v128, v38
	v_mov_b32_e32 v131, v38
	v_mov_b32_e32 v127, v38
	v_mov_b32_e32 v130, v38
	v_mov_b32_e32 v126, v38
	v_mov_b32_e32 v134, -1
	v_cmp_lt_i32_e64 s[4:5], -1, v106
	v_mov_b32_e32 v1, v33
	v_mov_b32_e32 v2, v34
	;; [unrolled: 1-line block ×21, first 2 shown]
	v_mov_b32_e32 v22, -1
	v_mov_b32_e32 v23, -1
	v_mov_b32_e32 v24, v56
	v_mov_b32_e32 v25, v57
	;; [unrolled: 1-line block ×8, first 2 shown]
	s_and_saveexec_b64 s[40:41], s[4:5]
                                        ; implicit-def: $vgpr118
                                        ; implicit-def: $vgpr121
                                        ; implicit-def: $vgpr119
                                        ; implicit-def: $vgpr122
                                        ; implicit-def: $vgpr123
                                        ; implicit-def: $vgpr124
                                        ; implicit-def: $vgpr120
                                        ; implicit-def: $vgpr125
                                        ; implicit-def: $vgpr18_vgpr19
                                        ; implicit-def: $vgpr20_vgpr21
	s_cbranch_execz .LBB4_10
; %bb.9:
	s_mov_b32 s8, 0
	v_lshl_add_u32 v4, v137, 3, s8
	v_lshl_add_u32 v5, v106, 3, s8
	buffer_load_dword v0, v4, s[0:3], 0 offen
	buffer_load_dword v1, v4, s[0:3], 0 offen offset:4
	buffer_load_dword v2, v5, s[0:3], 0 offen
	buffer_load_dword v3, v5, s[0:3], 0 offen offset:4
	v_lshl_add_u32 v12, v135, 3, s8
	v_lshl_add_u32 v13, v136, 3, s8
	buffer_load_dword v4, v12, s[0:3], 0 offen
	buffer_load_dword v5, v12, s[0:3], 0 offen offset:4
	buffer_load_dword v6, v13, s[0:3], 0 offen
	buffer_load_dword v7, v13, s[0:3], 0 offen offset:4
	v_cmp_eq_u32_e32 vcc, 1, v106
	v_cndmask_b32_e32 v8, v33, v35, vcc
	v_cmp_eq_u32_e64 s[10:11], 1, v137
	v_cmp_eq_u32_e64 s[6:7], 1, v136
	;; [unrolled: 1-line block ×4, first 2 shown]
	v_mov_b32_e32 v9, 5
	v_cndmask_b32_e64 v10, v33, v35, s[10:11]
	v_cndmask_b32_e64 v11, v33, v35, s[6:7]
	;; [unrolled: 1-line block ×4, first 2 shown]
	v_cndmask_b32_e32 v13, v32, v34, vcc
	v_cmp_eq_u32_e64 s[16:17], 2, v137
	v_cndmask_b32_e64 v14, v32, v34, s[10:11]
	v_cndmask_b32_e32 v15, v83, v79, vcc
	v_cndmask_b32_e32 v16, v82, v78, vcc
	v_cndmask_b32_e64 v17, v83, v79, s[10:11]
	v_cndmask_b32_e64 v18, v82, v78, s[10:11]
	v_cndmask_b32_e32 v19, v89, v87, vcc
	v_cndmask_b32_e32 v20, v88, v86, vcc
	v_cndmask_b32_e64 v21, v89, v87, s[10:11]
	;; [unrolled: 4-line block ×3, first 2 shown]
	v_cndmask_b32_e64 v28, v98, v96, s[10:11]
	v_cmp_eq_u32_e64 s[10:11], 2, v136
	v_cmp_eq_u32_e64 s[12:13], 2, v135
	v_cmp_eq_u32_e32 vcc, 3, v106
	buffer_store_dword v9, off, s[0:3], 0 offset:84
	v_cndmask_b32_e64 v29, v11, v37, s[10:11]
	v_cndmask_b32_e64 v31, v12, v37, s[12:13]
	v_cndmask_b32_e64 v8, v8, 0, vcc
	v_cndmask_b32_e64 v9, v13, v36, s[14:15]
	v_cndmask_b32_e64 v11, v14, v36, s[16:17]
	;; [unrolled: 1-line block ×11, first 2 shown]
	v_cmp_eq_u32_e64 s[14:15], 4, v106
	v_cndmask_b32_e64 v19, v24, v84, s[16:17]
	v_cndmask_b32_e64 v24, v27, v95, s[16:17]
	;; [unrolled: 1-line block ×3, first 2 shown]
	v_cndmask_b32_e64 v27, v9, 0, vcc
	v_cndmask_b32_e64 v12, v12, 0, vcc
	;; [unrolled: 1-line block ×3, first 2 shown]
	v_cndmask_b32_e64 v40, v12, 0, s[14:15]
	v_cndmask_b32_e64 v41, v13, 0, s[14:15]
	;; [unrolled: 1-line block ×3, first 2 shown]
	v_cmp_eq_u32_e64 s[18:19], 3, v137
	v_cndmask_b32_e64 v10, v10, 0, s[18:19]
	v_cndmask_b32_e64 v25, v28, v94, s[16:17]
	v_cmp_eq_u32_e64 s[16:17], 4, v137
	v_cndmask_b32_e64 v10, v10, 0, s[16:17]
	v_cndmask_b32_e64 v11, v11, 0, s[18:19]
	;; [unrolled: 1-line block ×7, first 2 shown]
	v_cndmask_b32_e64 v20, v20, 0, vcc
	v_cndmask_b32_e64 v21, v21, 0, vcc
	v_cndmask_b32_e64 v27, v27, 0, s[14:15]
	v_cndmask_b32_e64 v42, v14, 0, s[16:17]
	;; [unrolled: 1-line block ×7, first 2 shown]
	s_waitcnt vmcnt(7)
	v_add_f64 v[8:9], -v[0:1], 0
	v_cmp_eq_u32_e64 s[22:23], 8, v137
	s_waitcnt vmcnt(5)
	v_add_f64 v[0:1], v[2:3], -v[0:1]
	v_cmp_eq_u32_e64 s[24:25], 3, v135
	v_cmp_eq_u32_e64 s[26:27], 4, v135
	;; [unrolled: 1-line block ×6, first 2 shown]
	v_cndmask_b32_e64 v30, v32, v34, s[6:7]
	v_div_scale_f64 v[2:3], s[20:21], v[0:1], v[0:1], v[8:9]
	v_cndmask_b32_e64 v18, v18, v0, s[18:19]
	v_cndmask_b32_e64 v19, v19, v0, s[18:19]
	v_cmp_eq_u32_e64 s[18:19], 5, v137
	v_cndmask_b32_e64 v28, v10, 0, s[18:19]
	s_waitcnt vmcnt(3)
	v_add_f64 v[10:11], -v[4:5], 0
	s_waitcnt vmcnt(1)
	v_add_f64 v[4:5], v[6:7], -v[4:5]
	v_cndmask_b32_e32 v16, v16, v0, vcc
	v_cndmask_b32_e32 v17, v17, v0, vcc
	v_cndmask_b32_e64 v16, v16, v0, s[14:15]
	v_cndmask_b32_e64 v17, v17, v0, s[14:15]
	v_cmp_eq_u32_e32 vcc, 5, v106
	v_cndmask_b32_e64 v18, v18, v0, s[16:17]
	v_cndmask_b32_e64 v19, v19, v0, s[16:17]
	v_div_scale_f64 v[6:7], s[14:15], v[4:5], v[4:5], v[10:11]
	v_rcp_f64_e32 v[12:13], v[2:3]
	v_cndmask_b32_e64 v26, v26, 0, vcc
	v_cndmask_b32_e64 v27, v27, 0, vcc
	;; [unrolled: 1-line block ×4, first 2 shown]
	v_cndmask_b32_e32 v44, v16, v0, vcc
	v_cndmask_b32_e32 v45, v17, v0, vcc
	v_cndmask_b32_e64 v46, v18, v0, s[18:19]
	v_cndmask_b32_e64 v47, v19, v0, s[18:19]
	v_cndmask_b32_e64 v48, v20, 0, vcc
	v_cndmask_b32_e64 v49, v21, 0, vcc
	v_div_scale_f64 v[16:17], vcc, v[8:9], v[0:1], v[8:9]
	v_cmp_eq_u32_e64 s[14:15], 6, v106
	v_cndmask_b32_e64 v26, v26, 0, s[14:15]
	v_cndmask_b32_e64 v27, v27, 0, s[14:15]
	v_fma_f64 v[14:15], -v[2:3], v[12:13], 1.0
	v_cndmask_b32_e64 v40, v40, 0, s[14:15]
	v_cndmask_b32_e64 v41, v41, 0, s[14:15]
	;; [unrolled: 1-line block ×6, first 2 shown]
	v_cmp_eq_u32_e64 s[16:17], 6, v137
	v_fma_f64 v[12:13], v[12:13], v[14:15], v[12:13]
	v_rcp_f64_e32 v[14:15], v[6:7]
	v_cndmask_b32_e64 v39, v39, 0, s[18:19]
	v_cndmask_b32_e64 v42, v42, 0, s[18:19]
	;; [unrolled: 1-line block ×5, first 2 shown]
	v_cmp_eq_u32_e64 s[18:19], 7, v106
	v_fma_f64 v[18:19], -v[2:3], v[12:13], 1.0
	v_cndmask_b32_e64 v28, v28, 0, s[16:17]
	v_cndmask_b32_e64 v26, v26, 0, s[18:19]
	v_cmp_eq_u32_e64 s[20:21], 7, v137
	v_cndmask_b32_e64 v39, v39, 0, s[16:17]
	v_cndmask_b32_e64 v42, v42, 0, s[16:17]
	;; [unrolled: 1-line block ×4, first 2 shown]
	v_fma_f64 v[12:13], v[12:13], v[18:19], v[12:13]
	v_fma_f64 v[18:19], -v[6:7], v[14:15], 1.0
	v_cndmask_b32_e64 v47, v47, v0, s[16:17]
	v_cndmask_b32_e64 v24, v24, 0, s[16:17]
	;; [unrolled: 1-line block ×3, first 2 shown]
	v_cmp_eq_u32_e64 s[16:17], 8, v106
	v_cndmask_b32_e64 v25, v26, 0, s[16:17]
	v_cndmask_b32_e64 v26, v41, 0, s[18:19]
	v_mul_f64 v[20:21], v[16:17], v[12:13]
	v_fma_f64 v[14:15], v[14:15], v[18:19], v[14:15]
	v_div_scale_f64 v[18:19], s[14:15], v[10:11], v[4:5], v[10:11]
	v_cndmask_b32_e64 v41, v46, v0, s[20:21]
	v_cndmask_b32_e64 v28, v28, 0, s[20:21]
	;; [unrolled: 1-line block ×3, first 2 shown]
	v_mov_b32_e32 v22, 3
	v_fma_f64 v[2:3], -v[2:3], v[20:21], v[16:17]
	v_fma_f64 v[16:17], -v[6:7], v[14:15], 1.0
	v_mov_b32_e32 v23, 4
	v_mov_b32_e32 v117, v38
	;; [unrolled: 1-line block ×6, first 2 shown]
	v_div_fmas_f64 v[2:3], v[2:3], v[12:13], v[20:21]
	v_fma_f64 v[12:13], v[14:15], v[16:17], v[14:15]
	v_cndmask_b32_e64 v20, v27, 0, s[18:19]
	v_cndmask_b32_e64 v14, v39, 0, s[20:21]
	;; [unrolled: 1-line block ×7, first 2 shown]
	v_mul_f64 v[16:17], v[18:19], v[12:13]
	v_cndmask_b32_e64 v15, v28, 0, s[22:23]
	v_cndmask_b32_e64 v14, v14, 0, s[22:23]
	s_mov_b64 vcc, s[14:15]
	v_cndmask_b32_e64 v45, v24, 0, s[20:21]
	v_cndmask_b32_e64 v24, v20, 0, s[16:17]
	;; [unrolled: 1-line block ×3, first 2 shown]
	v_div_fixup_f64 v[0:1], v[2:3], v[0:1], v[8:9]
	v_fma_f64 v[2:3], -v[6:7], v[16:17], v[18:19]
	v_cndmask_b32_e64 v8, v26, 0, s[16:17]
	v_cndmask_b32_e64 v9, v21, 0, s[16:17]
	;; [unrolled: 1-line block ×5, first 2 shown]
	v_cmp_eq_u32_e64 s[14:15], 4, v136
	v_add_f64 v[6:7], -v[0:1], 1.0
	v_div_fmas_f64 v[2:3], v[2:3], v[12:13], v[16:17]
	v_cndmask_b32_e64 v13, v27, 0, s[22:23]
	v_cndmask_b32_e64 v12, v28, 0, s[22:23]
	;; [unrolled: 1-line block ×5, first 2 shown]
	v_cmp_eq_u32_e32 vcc, 3, v136
	v_mul_f64 v[19:20], v[14:15], v[6:7]
	v_mul_f64 v[12:13], v[12:13], v[6:7]
	v_cndmask_b32_e64 v15, v45, 0, s[22:23]
	v_cndmask_b32_e64 v14, v46, 0, s[22:23]
	v_mul_f64 v[17:18], v[17:18], v[6:7]
	v_mul_f64 v[26:27], v[14:15], v[6:7]
	v_cndmask_b32_e64 v15, v40, v0, s[16:17]
	v_cndmask_b32_e64 v28, v83, v79, s[8:9]
	v_fma_f64 v[6:7], v[24:25], v[0:1], v[19:20]
	v_fma_f64 v[90:91], v[8:9], v[0:1], v[12:13]
	v_cndmask_b32_e64 v20, v44, 0, s[16:17]
	v_div_fixup_f64 v[24:25], v[2:3], v[4:5], v[10:11]
	v_fma_f64 v[18:19], v[15:16], v[0:1], v[17:18]
	v_fma_f64 v[100:101], v[20:21], v[0:1], v[26:27]
	v_cmp_eq_u32_e64 s[16:17], 5, v136
	v_cmp_eq_u32_e64 s[18:19], 6, v136
	v_cndmask_b32_e32 v0, v29, v7, vcc
	v_cndmask_b32_e64 v0, v0, 0, s[14:15]
	v_cndmask_b32_e64 v0, v0, 0, s[16:17]
	;; [unrolled: 1-line block ×4, first 2 shown]
	v_cmp_eq_u32_e64 s[20:21], 7, v136
	v_cndmask_b32_e64 v28, v28, v91, s[24:25]
	v_cndmask_b32_e64 v0, v0, 0, s[20:21]
	v_cmp_eq_u32_e64 s[22:23], 8, v136
	v_cndmask_b32_e64 v28, v28, 0, s[26:27]
	v_cndmask_b32_e64 v1, v0, 0, s[22:23]
	;; [unrolled: 1-line block ×9, first 2 shown]
	v_add_f64 v[26:27], -v[24:25], 1.0
	v_cndmask_b32_e64 v29, v28, 0, s[36:37]
	v_cndmask_b32_e64 v28, v82, v78, s[8:9]
	;; [unrolled: 1-line block ×10, first 2 shown]
	v_cndmask_b32_e32 v20, v20, v91, vcc
	v_cndmask_b32_e64 v28, v28, 0, s[26:27]
	v_cndmask_b32_e64 v0, v0, v6, s[24:25]
	;; [unrolled: 1-line block ×16, first 2 shown]
	v_mul_f64 v[28:29], v[28:29], v[26:27]
	v_cndmask_b32_e64 v2, v0, 0, s[36:37]
	v_cndmask_b32_e64 v20, v20, v80, s[10:11]
	v_mul_f64 v[2:3], v[2:3], v[26:27]
	v_cndmask_b32_e32 v20, v20, v90, vcc
	v_cndmask_b32_e64 v0, v30, v36, s[10:11]
	v_cndmask_b32_e64 v20, v20, 0, s[14:15]
	v_cndmask_b32_e32 v0, v0, v6, vcc
	v_cndmask_b32_e64 v20, v20, 0, s[16:17]
	v_cndmask_b32_e64 v0, v0, 0, s[14:15]
	;; [unrolled: 1-line block ×8, first 2 shown]
	v_fma_f64 v[92:93], v[20:21], v[24:25], v[28:29]
	v_cndmask_b32_e64 v28, v89, v87, s[8:9]
	v_cndmask_b32_e64 v0, v0, 0, s[22:23]
	;; [unrolled: 1-line block ×3, first 2 shown]
	v_fma_f64 v[8:9], v[0:1], v[24:25], v[2:3]
	v_mov_b32_e32 v0, v32
	v_cndmask_b32_e64 v28, v28, v19, s[24:25]
	v_cndmask_b32_e64 v28, v28, v0, s[26:27]
	;; [unrolled: 1-line block ×11, first 2 shown]
	v_cndmask_b32_e32 v20, v20, v19, vcc
	v_cndmask_b32_e64 v28, v28, v0, s[26:27]
	v_cndmask_b32_e64 v20, v20, v0, s[14:15]
	;; [unrolled: 1-line block ×11, first 2 shown]
	v_mul_f64 v[28:29], v[28:29], v[26:27]
	v_cndmask_b32_e64 v20, v20, v84, s[10:11]
	v_cndmask_b32_e32 v20, v20, v18, vcc
	v_cndmask_b32_e64 v20, v20, v0, s[14:15]
	v_cndmask_b32_e64 v20, v20, v0, s[16:17]
	;; [unrolled: 1-line block ×5, first 2 shown]
	v_fma_f64 v[20:21], v[20:21], v[24:25], v[28:29]
	v_cndmask_b32_e64 v29, v99, v97, s[8:9]
	v_cndmask_b32_e64 v29, v29, v95, s[12:13]
	;; [unrolled: 1-line block ×18, first 2 shown]
	v_mul_f64 v[29:30], v[29:30], v[26:27]
	v_cndmask_b32_e64 v28, v28, v95, s[10:11]
	v_cndmask_b32_e64 v26, v31, v94, s[10:11]
	v_cndmask_b32_e32 v28, v28, v101, vcc
	v_cndmask_b32_e32 v26, v26, v100, vcc
	v_cndmask_b32_e64 v28, v28, 0, s[14:15]
	v_cndmask_b32_e64 v26, v26, 0, s[14:15]
	;; [unrolled: 1-line block ×10, first 2 shown]
	v_fma_f64 v[102:103], v[27:28], v[24:25], v[29:30]
	v_mov_b32_e32 v1, v33
	v_mov_b32_e32 v2, v34
	;; [unrolled: 1-line block ×24, first 2 shown]
                                        ; implicit-def: $vgpr118
                                        ; implicit-def: $vgpr121
                                        ; implicit-def: $vgpr119
                                        ; implicit-def: $vgpr122
                                        ; implicit-def: $vgpr123
                                        ; implicit-def: $vgpr124
                                        ; implicit-def: $vgpr120
                                        ; implicit-def: $vgpr125
.LBB4_10:
	s_or_b64 exec, exec, s[40:41]
	s_mov_b64 s[6:7], 0
	buffer_store_dword v134, off, s[0:3], 0 offset:80
	s_branch .LBB4_12
.LBB4_11:                               ;   in Loop: Header=BB4_12 Depth=1
	s_or_b64 exec, exec, s[10:11]
	s_waitcnt vmcnt(0)
	v_cmp_gt_i32_e32 vcc, 0, v24
	s_or_b64 s[6:7], vcc, s[6:7]
	v_mov_b32_e32 v38, v24
	s_andn2_b64 exec, exec, s[6:7]
	s_cbranch_execz .LBB4_18
.LBB4_12:                               ; =>This Inner Loop Header: Depth=1
	v_lshlrev_b32_e32 v24, 2, v38
	v_mov_b32_e32 v25, v24
	v_add_u32_e32 v28, v25, v24
	buffer_load_dword v26, v28, s[0:3], 0 offen
	buffer_load_dword v27, v28, s[0:3], 0 offen offset:4
	buffer_load_dword v24, v25, s[0:3], 0 offen offset:40
	s_mov_b64 s[8:9], 0
	s_waitcnt vmcnt(1)
	v_cmp_ngt_f64_e32 vcc, 0, v[26:27]
	s_and_saveexec_b64 s[10:11], vcc
	s_xor_b64 s[10:11], exec, s[10:11]
	s_cbranch_execnz .LBB4_15
; %bb.13:                               ;   in Loop: Header=BB4_12 Depth=1
	s_or_saveexec_b64 s[10:11], s[10:11]
	v_mov_b32_e32 v26, 0x50
	s_xor_b64 exec, exec, s[10:11]
	s_cbranch_execnz .LBB4_16
.LBB4_14:                               ;   in Loop: Header=BB4_12 Depth=1
	s_or_b64 exec, exec, s[10:11]
	s_and_saveexec_b64 s[10:11], s[8:9]
	s_cbranch_execz .LBB4_11
	s_branch .LBB4_17
.LBB4_15:                               ;   in Loop: Header=BB4_12 Depth=1
	buffer_load_dword v25, off, s[0:3], 0 offset:80
	s_waitcnt vmcnt(0)
	v_cmp_eq_u32_e32 vcc, -1, v25
	s_and_b64 s[8:9], vcc, exec
                                        ; implicit-def: $vgpr25
	s_or_saveexec_b64 s[10:11], s[10:11]
	v_mov_b32_e32 v26, 0x50
	s_xor_b64 exec, exec, s[10:11]
	s_cbranch_execz .LBB4_14
.LBB4_16:                               ;   in Loop: Header=BB4_12 Depth=1
	buffer_load_dword v27, off, s[0:3], 0 offset:84
	v_mov_b32_e32 v26, 0x54
	s_or_b64 s[8:9], s[8:9], exec
	s_waitcnt vmcnt(0)
	buffer_store_dword v27, v25, s[0:3], 0 offen offset:40
	s_or_b64 exec, exec, s[10:11]
	s_and_saveexec_b64 s[10:11], s[8:9]
	s_cbranch_execz .LBB4_11
.LBB4_17:                               ;   in Loop: Header=BB4_12 Depth=1
	buffer_store_dword v38, v26, s[0:3], 0 offen
	s_branch .LBB4_11
.LBB4_18:
	s_or_b64 exec, exec, s[6:7]
	s_and_saveexec_b64 s[6:7], s[4:5]
	s_cbranch_execz .LBB4_20
; %bb.19:
	v_cmp_gt_f64_e32 vcc, 0, v[104:105]
	v_mov_b32_e32 v24, 0
	v_lshl_add_u32 v25, v106, 2, v24
	v_lshl_add_u32 v26, v22, 2, v24
	;; [unrolled: 1-line block ×3, first 2 shown]
	buffer_store_dword v22, v25, s[0:3], 0 offen offset:40
	s_or_b64 s[4:5], s[38:39], vcc
	v_cndmask_b32_e64 v22, v107, -1, s[4:5]
	buffer_store_dword v23, v26, s[0:3], 0 offen offset:40
	buffer_store_dword v22, v24, s[0:3], 0 offen offset:40
.LBB4_20:
	s_or_b64 exec, exec, s[6:7]
	buffer_load_dword v27, off, s[0:3], 0 offset:80
	v_mov_b32_e32 v26, -1
	s_mov_b64 s[96:97], 0
	v_mov_b32_e32 v30, -1
	v_mov_b32_e32 v31, -1
	;; [unrolled: 1-line block ×3, first 2 shown]
	s_waitcnt vmcnt(0)
	v_cmp_eq_u32_e32 vcc, 1, v27
	v_cndmask_b32_e32 v22, v1, v3, vcc
	v_cmp_eq_u32_e64 s[6:7], 2, v27
	v_cndmask_b32_e64 v22, v22, v5, s[6:7]
	v_cndmask_b32_e32 v23, v0, v2, vcc
	v_cmp_eq_u32_e32 vcc, 3, v27
	v_cndmask_b32_e32 v22, v22, v7, vcc
	v_cndmask_b32_e64 v23, v23, v4, s[6:7]
	v_cmp_eq_u32_e64 s[6:7], 4, v27
	v_cndmask_b32_e64 v22, v22, v9, s[6:7]
	v_cndmask_b32_e32 v23, v23, v6, vcc
	v_cmp_eq_u32_e32 vcc, 5, v27
	v_cndmask_b32_e32 v22, v22, v11, vcc
	v_cndmask_b32_e64 v23, v23, v8, s[6:7]
	;; [unrolled: 6-line block ×3, first 2 shown]
	v_cmp_eq_u32_e64 s[6:7], 8, v27
	v_cndmask_b32_e64 v23, v22, v17, s[6:7]
	v_cndmask_b32_e32 v22, v24, v14, vcc
	v_cmp_lt_i32_e64 s[4:5], -1, v27
	v_cndmask_b32_e64 v22, v22, v16, s[6:7]
	s_and_saveexec_b64 s[14:15], s[4:5]
	s_cbranch_execz .LBB4_24
; %bb.21:
	v_mov_b32_e32 v25, v23
	v_mov_b32_e32 v26, -1
	s_mov_b64 s[16:17], 0
	v_mov_b32_e32 v29, 0
	v_mov_b32_e32 v32, v27
	v_mov_b32_e32 v30, -1
	v_mov_b32_e32 v31, -1
	;; [unrolled: 1-line block ×3, first 2 shown]
	v_mov_b32_e32 v24, v22
                                        ; implicit-def: $sgpr18_sgpr19
.LBB4_22:                               ; =>This Inner Loop Header: Depth=1
	v_lshl_add_u32 v33, v32, 2, v29
	buffer_load_dword v33, v33, s[0:3], 0 offen offset:40
	v_cmp_le_f64_e32 vcc, 0, v[24:25]
	v_cmp_gt_f64_e64 s[6:7], 0, v[24:25]
	s_waitcnt vmcnt(0)
	v_cmp_gt_i32_e64 s[8:9], 0, v33
	v_cndmask_b32_e64 v34, v33, v27, s[8:9]
	v_cmp_eq_u32_e64 s[10:11], 1, v34
	v_cndmask_b32_e64 v24, v1, v3, s[10:11]
	v_cmp_eq_u32_e64 s[12:13], 2, v34
	v_cndmask_b32_e64 v24, v24, v5, s[12:13]
	v_cndmask_b32_e64 v25, v0, v2, s[10:11]
	v_cmp_eq_u32_e64 s[10:11], 3, v34
	v_cndmask_b32_e64 v24, v24, v7, s[10:11]
	;; [unrolled: 3-line block ×7, first 2 shown]
	v_cndmask_b32_e64 v24, v35, v14, s[10:11]
	v_cndmask_b32_e64 v24, v24, v16, s[12:13]
	v_cmp_gt_f64_e64 s[10:11], 0, v[24:25]
	v_cmp_le_f64_e64 s[12:13], 0, v[24:25]
	s_and_b64 vcc, vcc, s[10:11]
	s_and_b64 s[10:11], s[6:7], s[12:13]
	s_or_b64 s[16:17], s[8:9], s[16:17]
	s_andn2_b64 s[8:9], s[18:19], exec
	s_and_b64 s[6:7], s[6:7], exec
	v_cndmask_b32_e32 v31, v31, v34, vcc
	v_cndmask_b32_e64 v28, v28, v34, s[10:11]
	v_cndmask_b32_e32 v26, v26, v32, vcc
	v_cndmask_b32_e64 v30, v30, v32, s[10:11]
	v_mov_b32_e32 v32, v33
	s_or_b64 s[18:19], s[8:9], s[6:7]
	s_andn2_b64 exec, exec, s[16:17]
	s_cbranch_execnz .LBB4_22
; %bb.23:
	s_or_b64 exec, exec, s[16:17]
	s_and_b64 s[96:97], s[18:19], exec
.LBB4_24:
	s_or_b64 exec, exec, s[14:15]
	v_mov_b32_e32 v25, -1
	v_cmp_lt_i32_e64 s[6:7], -1, v26
	v_mov_b32_e32 v24, -1
	v_mov_b32_e32 v29, -1
	s_and_saveexec_b64 s[98:99], s[6:7]
	s_cbranch_execz .LBB4_26
; %bb.25:
	v_cmp_eq_u32_e64 s[8:9], 1, v31
	v_cndmask_b32_e64 v24, v1, v3, s[8:9]
	v_cmp_eq_u32_e64 s[10:11], 2, v31
	v_cndmask_b32_e64 v24, v24, v5, s[10:11]
	;; [unrolled: 2-line block ×8, first 2 shown]
	v_cndmask_b32_e64 v24, v0, v2, s[8:9]
	v_cndmask_b32_e64 v24, v24, v4, s[10:11]
	;; [unrolled: 1-line block ×7, first 2 shown]
	v_cmp_eq_u32_e64 s[54:55], 1, v26
	v_cndmask_b32_e64 v31, v24, v16, s[22:23]
	v_cndmask_b32_e64 v24, v1, v3, s[54:55]
	v_cmp_eq_u32_e64 s[56:57], 2, v26
	v_cndmask_b32_e64 v24, v24, v5, s[56:57]
	v_cmp_eq_u32_e64 s[24:25], 3, v26
	;; [unrolled: 2-line block ×7, first 2 shown]
	v_cndmask_b32_e64 v36, v24, v17, s[36:37]
	v_cndmask_b32_e64 v24, v0, v2, s[54:55]
	;; [unrolled: 1-line block ×9, first 2 shown]
	v_add_f64 v[33:34], -v[31:32], 0
	v_add_f64 v[37:38], v[35:36], -v[31:32]
	buffer_load_dword v24, off, s[0:3], 0 offset:84
	v_cndmask_b32_e64 v29, v83, v79, s[54:55]
	v_cndmask_b32_e64 v29, v29, v81, s[56:57]
	v_cndmask_b32_e64 v29, v29, v91, s[24:25]
	v_cndmask_b32_e64 v29, v29, v93, s[26:27]
	v_cndmask_b32_e64 v29, v29, v110, s[28:29]
	v_cndmask_b32_e64 v29, v29, v113, s[30:31]
	v_div_scale_f64 v[39:40], s[38:39], v[37:38], v[37:38], v[33:34]
	v_cndmask_b32_e64 v29, v29, v112, s[34:35]
	v_cmp_eq_u32_e64 s[38:39], 1, v30
	v_cmp_eq_u32_e64 s[72:73], 1, v28
	;; [unrolled: 1-line block ×13, first 2 shown]
	v_rcp_f64_e32 v[41:42], v[39:40]
	v_cmp_eq_u32_e64 s[68:69], 7, v28
	v_cmp_eq_u32_e64 s[52:53], 8, v30
	;; [unrolled: 1-line block ×3, first 2 shown]
	v_fma_f64 v[43:44], -v[39:40], v[41:42], 1.0
	v_fma_f64 v[41:42], v[41:42], v[43:44], v[41:42]
	v_div_scale_f64 v[43:44], vcc, v[33:34], v[37:38], v[33:34]
	v_fma_f64 v[45:46], -v[39:40], v[41:42], 1.0
	v_fma_f64 v[41:42], v[41:42], v[45:46], v[41:42]
	v_mul_f64 v[45:46], v[43:44], v[41:42]
	v_fma_f64 v[39:40], -v[39:40], v[45:46], v[43:44]
	v_cndmask_b32_e64 v43, v83, v79, s[8:9]
	v_cndmask_b32_e64 v43, v43, v81, s[10:11]
	;; [unrolled: 1-line block ×4, first 2 shown]
	s_waitcnt vmcnt(0)
	v_cmp_eq_u32_e64 s[88:89], 1, v24
	v_cmp_eq_u32_e64 s[90:91], 0, v24
	;; [unrolled: 1-line block ×3, first 2 shown]
	v_div_fmas_f64 v[39:40], v[39:40], v[41:42], v[45:46]
	v_cndmask_b32_e64 v42, v82, v78, s[54:55]
	v_cndmask_b32_e64 v42, v42, v80, s[56:57]
	v_mov_b32_e32 v41, 0
	v_cmp_eq_u32_e64 s[84:85], 3, v24
	v_cmp_eq_u32_e64 s[82:83], 4, v24
	;; [unrolled: 1-line block ×6, first 2 shown]
	v_div_fixup_f64 v[33:34], v[39:40], v[37:38], v[33:34]
	v_cndmask_b32_e64 v37, v42, v90, s[24:25]
	v_cndmask_b32_e64 v38, v43, v91, s[12:13]
	;; [unrolled: 1-line block ×7, first 2 shown]
	v_add_f64 v[37:38], -v[33:34], 1.0
	v_cndmask_b32_e64 v42, v42, v110, s[16:17]
	v_cndmask_b32_e64 v39, v39, v117, s[16:17]
	;; [unrolled: 1-line block ×7, first 2 shown]
	v_mul_f64 v[31:32], v[31:32], v[37:38]
	v_cndmask_b32_e64 v40, v40, v111, s[22:23]
	v_cndmask_b32_e64 v39, v39, v115, s[22:23]
	v_mul_f64 v[39:40], v[39:40], v[37:38]
	v_fma_f64 v[31:32], v[35:36], v[33:34], v[31:32]
	v_cndmask_b32_e64 v36, v29, v111, s[36:37]
	v_lshl_add_u32 v29, v24, 2, v41
	buffer_load_dword v29, v29, s[0:3], 0 offen offset:40
	v_cndmask_b32_e64 v35, v43, v114, s[34:35]
	v_cndmask_b32_e64 v35, v35, v115, s[36:37]
	v_fma_f64 v[35:36], v[35:36], v[33:34], v[39:40]
	v_cndmask_b32_e64 v136, v3, v32, s[88:89]
	v_cndmask_b32_e64 v137, v1, v32, s[90:91]
	;; [unrolled: 1-line block ×50, first 2 shown]
	v_add_f64 v[2:3], -v[0:1], 0
	v_add_f64 v[6:7], v[4:5], -v[0:1]
	v_cndmask_b32_e64 v12, v89, v87, s[8:9]
	v_cndmask_b32_e64 v12, v12, v85, s[10:11]
	;; [unrolled: 1-line block ×7, first 2 shown]
	v_div_scale_f64 v[8:9], vcc, v[6:7], v[6:7], v[2:3]
	v_cndmask_b32_e64 v15, v14, v118, s[22:23]
	v_cndmask_b32_e64 v14, v88, v86, s[8:9]
	;; [unrolled: 1-line block ×14, first 2 shown]
	v_rcp_f64_e32 v[12:13], v[8:9]
	v_cndmask_b32_e64 v10, v10, v119, s[34:35]
	v_cndmask_b32_e64 v14, v14, v121, s[22:23]
	;; [unrolled: 1-line block ×4, first 2 shown]
	v_mul_f64 v[14:15], v[37:38], v[14:15]
	v_cndmask_b32_e64 v10, v10, v84, s[56:57]
	v_cndmask_b32_e64 v10, v10, v18, s[24:25]
	;; [unrolled: 1-line block ×7, first 2 shown]
	v_fma_f64 v[10:11], v[33:34], v[10:11], v[14:15]
	s_waitcnt vmcnt(0)
	v_lshl_add_u32 v14, v29, 2, v41
	buffer_load_dword v41, v14, s[0:3], 0 offen offset:40
	v_fma_f64 v[16:17], -v[8:9], v[12:13], 1.0
	v_cndmask_b32_e64 v115, v115, v35, s[74:75]
	v_cndmask_b32_e64 v114, v114, v35, s[76:77]
	;; [unrolled: 1-line block ×7, first 2 shown]
	v_fma_f64 v[12:13], v[12:13], v[16:17], v[12:13]
	v_div_scale_f64 v[16:17], vcc, v[2:3], v[6:7], v[2:3]
	v_cndmask_b32_e64 v122, v122, v10, s[76:77]
	v_cndmask_b32_e64 v124, v124, v10, s[78:79]
	;; [unrolled: 1-line block ×5, first 2 shown]
	v_fma_f64 v[14:15], -v[8:9], v[12:13], 1.0
	v_cndmask_b32_e64 v86, v86, v10, s[88:89]
	v_cndmask_b32_e64 v88, v88, v10, s[90:91]
	;; [unrolled: 1-line block ×7, first 2 shown]
	v_fma_f64 v[12:13], v[12:13], v[14:15], v[12:13]
	v_cndmask_b32_e64 v10, v10, v103, s[26:27]
	v_cndmask_b32_e64 v10, v10, v129, s[28:29]
	;; [unrolled: 1-line block ×7, first 2 shown]
	v_mul_f64 v[14:15], v[16:17], v[12:13]
	v_cndmask_b32_e64 v80, v80, v35, s[86:87]
	v_cndmask_b32_e64 v78, v78, v35, s[88:89]
	v_cndmask_b32_e64 v82, v82, v35, s[90:91]
	v_cndmask_b32_e64 v35, v111, v36, s[74:75]
	v_cndmask_b32_e64 v112, v112, v36, s[76:77]
	v_cndmask_b32_e64 v113, v113, v36, s[78:79]
	v_cndmask_b32_e64 v110, v110, v36, s[80:81]
	v_fma_f64 v[8:9], -v[8:9], v[14:15], v[16:17]
	v_cndmask_b32_e64 v16, v20, v95, s[10:11]
	v_cndmask_b32_e64 v16, v16, v101, s[12:13]
	;; [unrolled: 1-line block ×7, first 2 shown]
	v_div_fmas_f64 v[8:9], v[8:9], v[12:13], v[14:15]
	v_cndmask_b32_e64 v12, v98, v96, s[8:9]
	v_cndmask_b32_e64 v12, v12, v94, s[10:11]
	v_cndmask_b32_e64 v12, v12, v100, s[12:13]
	v_cndmask_b32_e64 v12, v12, v102, s[14:15]
	v_cndmask_b32_e64 v12, v12, v133, s[16:17]
	v_cndmask_b32_e64 v12, v12, v132, s[18:19]
	v_cndmask_b32_e64 v12, v12, v131, s[20:21]
	v_cndmask_b32_e64 v13, v16, v126, s[22:23]
	v_cndmask_b32_e64 v12, v12, v130, s[22:23]
	v_mul_f64 v[12:13], v[12:13], v[37:38]
	v_cndmask_b32_e64 v14, v18, v100, s[24:25]
	v_cndmask_b32_e64 v14, v14, v102, s[26:27]
	;; [unrolled: 1-line block ×5, first 2 shown]
	v_div_fixup_f64 v[30:31], v[8:9], v[6:7], v[2:3]
	v_cndmask_b32_e64 v9, v14, v130, s[36:37]
	v_fma_f64 v[2:3], v[9:10], v[33:34], v[12:13]
	v_cndmask_b32_e64 v91, v91, v36, s[84:85]
	v_cndmask_b32_e64 v81, v81, v36, s[86:87]
	;; [unrolled: 1-line block ×5, first 2 shown]
	v_add_f64 v[32:33], -v[30:31], 1.0
	v_cndmask_b32_e64 v87, v87, v11, s[88:89]
	v_cndmask_b32_e64 v130, v130, v2, s[74:75]
	;; [unrolled: 1-line block ×7, first 2 shown]
	v_mul_f64 v[0:1], v[0:1], v[32:33]
	v_cndmask_b32_e64 v94, v94, v2, s[86:87]
	v_cndmask_b32_e64 v96, v96, v2, s[88:89]
	;; [unrolled: 1-line block ×7, first 2 shown]
	v_fma_f64 v[0:1], v[4:5], v[30:31], v[0:1]
	v_cndmask_b32_e64 v4, v36, v79, s[38:39]
	v_cndmask_b32_e64 v4, v4, v81, s[40:41]
	;; [unrolled: 1-line block ×30, first 2 shown]
	v_mul_f64 v[18:19], v[18:19], v[32:33]
	v_cndmask_b32_e64 v2, v2, v80, s[58:59]
	v_cndmask_b32_e64 v2, v2, v90, s[60:61]
	;; [unrolled: 1-line block ×8, first 2 shown]
	v_fma_f64 v[18:19], v[2:3], v[30:31], v[18:19]
	v_cndmask_b32_e64 v85, v85, v11, s[86:87]
	v_cndmask_b32_e64 v34, v89, v87, s[38:39]
	;; [unrolled: 1-line block ×12, first 2 shown]
	v_cmp_eq_u32_e32 vcc, 8, v29
	v_cndmask_b32_e64 v34, v34, v119, s[50:51]
	v_cndmask_b32_e32 v111, v35, v19, vcc
	v_cndmask_b32_e64 v35, v34, v118, s[52:53]
	v_cndmask_b32_e64 v34, v88, v86, s[38:39]
	;; [unrolled: 1-line block ×18, first 2 shown]
	v_mul_f64 v[34:35], v[32:33], v[34:35]
	v_cmp_eq_u32_e64 s[22:23], 0, v29
	v_cndmask_b32_e64 v20, v20, v84, s[58:59]
	v_cndmask_b32_e64 v20, v20, v139, s[60:61]
	;; [unrolled: 1-line block ×14, first 2 shown]
	v_fma_f64 v[34:35], v[30:31], v[20:21], v[34:35]
	v_cndmask_b32_e64 v36, v36, v127, s[50:51]
	v_cndmask_b32_e32 v16, v39, v0, vcc
	v_cmp_eq_u32_e64 s[8:9], 7, v29
	v_cmp_eq_u32_e64 s[10:11], 6, v29
	;; [unrolled: 1-line block ×7, first 2 shown]
	v_cndmask_b32_e64 v39, v36, v126, s[52:53]
	v_cndmask_b32_e64 v36, v98, v96, s[38:39]
	v_cndmask_b32_e32 v115, v115, v18, vcc
	v_cndmask_b32_e64 v114, v114, v18, s[8:9]
	v_cndmask_b32_e64 v116, v116, v18, s[10:11]
	;; [unrolled: 1-line block ×26, first 2 shown]
	v_mul_f64 v[32:33], v[38:39], v[32:33]
	v_cndmask_b32_e64 v18, v18, v94, s[58:59]
	v_cndmask_b32_e64 v18, v18, v100, s[60:61]
	;; [unrolled: 1-line block ×7, first 2 shown]
	v_fma_f64 v[30:31], v[36:37], v[30:31], v[32:33]
	v_cndmask_b32_e32 v17, v49, v1, vcc
	v_cndmask_b32_e64 v15, v104, v1, s[8:9]
	v_cndmask_b32_e64 v14, v40, v0, s[8:9]
	;; [unrolled: 1-line block ×23, first 2 shown]
	v_cndmask_b32_e32 v118, v118, v35, vcc
	v_cndmask_b32_e32 v121, v121, v34, vcc
	v_cndmask_b32_e64 v119, v119, v35, s[8:9]
	v_cndmask_b32_e64 v122, v122, v34, s[8:9]
	;; [unrolled: 1-line block ×14, first 2 shown]
	v_cndmask_b32_e32 v126, v126, v31, vcc
	v_cndmask_b32_e32 v130, v130, v30, vcc
	v_cndmask_b32_e64 v127, v127, v31, s[8:9]
	v_cndmask_b32_e64 v131, v131, v30, s[8:9]
	;; [unrolled: 1-line block ×16, first 2 shown]
	s_waitcnt vmcnt(0)
	buffer_store_dword v41, off, s[0:3], 0 offset:84
.LBB4_26:
	s_or_b64 exec, exec, s[98:99]
	buffer_store_dword v25, off, s[0:3], 0 offset:80
	s_and_saveexec_b64 s[22:23], s[4:5]
	s_cbranch_execz .LBB4_35
; %bb.27:
	s_mov_b64 s[24:25], 0
	v_mov_b32_e32 v25, 0
	s_branch .LBB4_29
.LBB4_28:                               ;   in Loop: Header=BB4_29 Depth=1
	s_or_b64 exec, exec, s[10:11]
	s_waitcnt vmcnt(0)
	v_cmp_gt_i32_e32 vcc, 0, v30
	s_or_b64 s[24:25], vcc, s[24:25]
	v_mov_b32_e32 v27, v30
	s_andn2_b64 exec, exec, s[24:25]
	s_cbranch_execz .LBB4_35
.LBB4_29:                               ; =>This Inner Loop Header: Depth=1
	v_lshl_add_u32 v31, v27, 2, v25
	buffer_load_dword v30, v31, s[0:3], 0 offen offset:40
	v_cmp_eq_u32_e32 vcc, 1, v27
	v_cndmask_b32_e32 v32, v1, v3, vcc
	v_cmp_eq_u32_e64 s[8:9], 2, v27
	v_cndmask_b32_e64 v32, v32, v5, s[8:9]
	v_cmp_eq_u32_e64 s[10:11], 3, v27
	v_cndmask_b32_e64 v32, v32, v7, s[10:11]
	;; [unrolled: 2-line block ×7, first 2 shown]
	v_cndmask_b32_e32 v32, v0, v2, vcc
	v_cndmask_b32_e64 v32, v32, v4, s[8:9]
	v_cndmask_b32_e64 v32, v32, v6, s[10:11]
	v_cndmask_b32_e64 v32, v32, v8, s[12:13]
	v_cndmask_b32_e64 v32, v32, v10, s[14:15]
	v_cndmask_b32_e64 v32, v32, v12, s[16:17]
	v_cndmask_b32_e64 v32, v32, v14, s[18:19]
	v_cndmask_b32_e64 v32, v32, v16, s[20:21]
	v_cmp_ngt_f64_e32 vcc, 0, v[32:33]
	s_mov_b64 s[8:9], 0
	s_and_saveexec_b64 s[10:11], vcc
	s_xor_b64 s[10:11], exec, s[10:11]
	s_cbranch_execnz .LBB4_32
; %bb.30:                               ;   in Loop: Header=BB4_29 Depth=1
	s_or_saveexec_b64 s[10:11], s[10:11]
	v_mov_b32_e32 v32, 0x50
	s_xor_b64 exec, exec, s[10:11]
	s_cbranch_execnz .LBB4_33
.LBB4_31:                               ;   in Loop: Header=BB4_29 Depth=1
	s_or_b64 exec, exec, s[10:11]
	s_and_saveexec_b64 s[10:11], s[8:9]
	s_cbranch_execz .LBB4_28
	s_branch .LBB4_34
.LBB4_32:                               ;   in Loop: Header=BB4_29 Depth=1
	buffer_load_dword v31, off, s[0:3], 0 offset:80
	s_waitcnt vmcnt(0)
	v_cmp_eq_u32_e32 vcc, -1, v31
	s_and_b64 s[8:9], vcc, exec
                                        ; implicit-def: $vgpr31
	s_or_saveexec_b64 s[10:11], s[10:11]
	v_mov_b32_e32 v32, 0x50
	s_xor_b64 exec, exec, s[10:11]
	s_cbranch_execz .LBB4_31
.LBB4_33:                               ;   in Loop: Header=BB4_29 Depth=1
	buffer_load_dword v33, off, s[0:3], 0 offset:84
	v_mov_b32_e32 v32, 0x54
	s_or_b64 s[8:9], s[8:9], exec
	s_waitcnt vmcnt(0)
	buffer_store_dword v33, v31, s[0:3], 0 offen offset:40
	s_or_b64 exec, exec, s[10:11]
	s_and_saveexec_b64 s[10:11], s[8:9]
	s_cbranch_execz .LBB4_28
.LBB4_34:                               ;   in Loop: Header=BB4_29 Depth=1
	buffer_store_dword v27, v32, s[0:3], 0 offen
	s_branch .LBB4_28
.LBB4_35:
	s_or_b64 exec, exec, s[22:23]
	s_and_saveexec_b64 s[8:9], s[6:7]
	s_cbranch_execz .LBB4_37
; %bb.36:
	v_cmp_gt_f64_e32 vcc, 0, v[22:23]
	v_mov_b32_e32 v22, 0
	v_lshl_add_u32 v23, v26, 2, v22
	v_lshl_add_u32 v25, v24, 2, v22
	;; [unrolled: 1-line block ×3, first 2 shown]
	buffer_store_dword v24, v23, s[0:3], 0 offen offset:40
	s_and_b64 s[4:5], s[4:5], vcc
	s_or_b64 s[4:5], s[96:97], s[4:5]
	v_cndmask_b32_e64 v23, v28, -1, s[4:5]
	buffer_store_dword v29, v25, s[0:3], 0 offen offset:40
	buffer_store_dword v23, v22, s[0:3], 0 offen offset:40
.LBB4_37:
	s_or_b64 exec, exec, s[8:9]
	buffer_load_dword v27, off, s[0:3], 0 offset:80
	v_mov_b32_e32 v26, -1
	s_mov_b64 s[96:97], 0
	v_mov_b32_e32 v30, -1
	v_mov_b32_e32 v31, -1
	;; [unrolled: 1-line block ×3, first 2 shown]
	s_waitcnt vmcnt(0)
	v_cmp_eq_u32_e32 vcc, 1, v27
	v_cndmask_b32_e32 v22, v83, v79, vcc
	v_cmp_eq_u32_e64 s[6:7], 2, v27
	v_cndmask_b32_e64 v22, v22, v81, s[6:7]
	v_cndmask_b32_e32 v23, v82, v78, vcc
	v_cmp_eq_u32_e32 vcc, 3, v27
	v_cndmask_b32_e32 v22, v22, v91, vcc
	v_cndmask_b32_e64 v23, v23, v80, s[6:7]
	v_cmp_eq_u32_e64 s[6:7], 4, v27
	v_cndmask_b32_e64 v22, v22, v93, s[6:7]
	v_cndmask_b32_e32 v23, v23, v90, vcc
	v_cmp_eq_u32_e32 vcc, 5, v27
	v_cndmask_b32_e32 v22, v22, v110, vcc
	v_cndmask_b32_e64 v23, v23, v92, s[6:7]
	;; [unrolled: 6-line block ×3, first 2 shown]
	v_cmp_eq_u32_e64 s[6:7], 8, v27
	v_cndmask_b32_e64 v23, v22, v111, s[6:7]
	v_cndmask_b32_e32 v22, v24, v114, vcc
	v_cmp_lt_i32_e64 s[4:5], -1, v27
	v_cndmask_b32_e64 v22, v22, v115, s[6:7]
	s_and_saveexec_b64 s[14:15], s[4:5]
	s_cbranch_execz .LBB4_41
; %bb.38:
	v_mov_b32_e32 v25, v23
	v_mov_b32_e32 v26, -1
	s_mov_b64 s[16:17], 0
	v_mov_b32_e32 v29, 0
	v_mov_b32_e32 v32, v27
	v_mov_b32_e32 v30, -1
	v_mov_b32_e32 v31, -1
	;; [unrolled: 1-line block ×3, first 2 shown]
	v_mov_b32_e32 v24, v22
                                        ; implicit-def: $sgpr18_sgpr19
.LBB4_39:                               ; =>This Inner Loop Header: Depth=1
	v_lshl_add_u32 v33, v32, 2, v29
	buffer_load_dword v33, v33, s[0:3], 0 offen offset:40
	v_cmp_le_f64_e32 vcc, 0, v[24:25]
	v_cmp_gt_f64_e64 s[6:7], 0, v[24:25]
	s_waitcnt vmcnt(0)
	v_cmp_gt_i32_e64 s[8:9], 0, v33
	v_cndmask_b32_e64 v34, v33, v27, s[8:9]
	v_cmp_eq_u32_e64 s[10:11], 1, v34
	v_cndmask_b32_e64 v24, v83, v79, s[10:11]
	v_cmp_eq_u32_e64 s[12:13], 2, v34
	v_cndmask_b32_e64 v24, v24, v81, s[12:13]
	v_cndmask_b32_e64 v25, v82, v78, s[10:11]
	v_cmp_eq_u32_e64 s[10:11], 3, v34
	v_cndmask_b32_e64 v24, v24, v91, s[10:11]
	;; [unrolled: 3-line block ×7, first 2 shown]
	v_cndmask_b32_e64 v24, v35, v114, s[10:11]
	v_cndmask_b32_e64 v24, v24, v115, s[12:13]
	v_cmp_gt_f64_e64 s[10:11], 0, v[24:25]
	v_cmp_le_f64_e64 s[12:13], 0, v[24:25]
	s_and_b64 vcc, vcc, s[10:11]
	s_and_b64 s[10:11], s[6:7], s[12:13]
	s_or_b64 s[16:17], s[8:9], s[16:17]
	s_andn2_b64 s[8:9], s[18:19], exec
	s_and_b64 s[6:7], s[6:7], exec
	v_cndmask_b32_e32 v31, v31, v34, vcc
	v_cndmask_b32_e64 v28, v28, v34, s[10:11]
	v_cndmask_b32_e32 v26, v26, v32, vcc
	v_cndmask_b32_e64 v30, v30, v32, s[10:11]
	v_mov_b32_e32 v32, v33
	s_or_b64 s[18:19], s[8:9], s[6:7]
	s_andn2_b64 exec, exec, s[16:17]
	s_cbranch_execnz .LBB4_39
; %bb.40:
	s_or_b64 exec, exec, s[16:17]
	s_and_b64 s[96:97], s[18:19], exec
.LBB4_41:
	s_or_b64 exec, exec, s[14:15]
	v_mov_b32_e32 v25, -1
	v_cmp_lt_i32_e64 s[6:7], -1, v26
	v_mov_b32_e32 v24, -1
	v_mov_b32_e32 v29, -1
	s_and_saveexec_b64 s[98:99], s[6:7]
	s_cbranch_execz .LBB4_43
; %bb.42:
	v_cmp_eq_u32_e64 s[8:9], 1, v31
	v_cndmask_b32_e64 v24, v83, v79, s[8:9]
	v_cmp_eq_u32_e64 s[10:11], 2, v31
	v_cndmask_b32_e64 v24, v24, v81, s[10:11]
	;; [unrolled: 2-line block ×8, first 2 shown]
	v_cndmask_b32_e64 v24, v82, v78, s[8:9]
	v_cndmask_b32_e64 v24, v24, v80, s[10:11]
	v_cndmask_b32_e64 v24, v24, v90, s[12:13]
	v_cndmask_b32_e64 v24, v24, v92, s[14:15]
	v_cndmask_b32_e64 v24, v24, v117, s[16:17]
	v_cndmask_b32_e64 v24, v24, v116, s[18:19]
	v_cndmask_b32_e64 v24, v24, v114, s[20:21]
	v_cmp_eq_u32_e64 s[54:55], 1, v26
	v_cndmask_b32_e64 v31, v24, v115, s[22:23]
	v_cndmask_b32_e64 v24, v83, v79, s[54:55]
	v_cmp_eq_u32_e64 s[56:57], 2, v26
	v_cndmask_b32_e64 v24, v24, v81, s[56:57]
	v_cmp_eq_u32_e64 s[24:25], 3, v26
	;; [unrolled: 2-line block ×7, first 2 shown]
	v_cndmask_b32_e64 v36, v24, v111, s[36:37]
	v_cndmask_b32_e64 v24, v82, v78, s[54:55]
	v_cndmask_b32_e64 v24, v24, v80, s[56:57]
	v_cndmask_b32_e64 v24, v24, v90, s[24:25]
	v_cndmask_b32_e64 v24, v24, v92, s[26:27]
	v_cndmask_b32_e64 v24, v24, v117, s[28:29]
	v_cndmask_b32_e64 v24, v24, v116, s[30:31]
	v_cndmask_b32_e64 v24, v24, v114, s[34:35]
	v_cndmask_b32_e64 v35, v24, v115, s[36:37]
	v_add_f64 v[33:34], -v[31:32], 0
	v_add_f64 v[37:38], v[35:36], -v[31:32]
	buffer_load_dword v24, off, s[0:3], 0 offset:84
	v_cndmask_b32_e64 v29, v1, v3, s[54:55]
	v_cndmask_b32_e64 v29, v29, v5, s[56:57]
	;; [unrolled: 1-line block ×6, first 2 shown]
	v_div_scale_f64 v[39:40], s[38:39], v[37:38], v[37:38], v[33:34]
	v_cndmask_b32_e64 v29, v29, v15, s[34:35]
	v_cmp_eq_u32_e64 s[38:39], 1, v30
	v_cmp_eq_u32_e64 s[40:41], 2, v30
	;; [unrolled: 1-line block ×13, first 2 shown]
	v_rcp_f64_e32 v[41:42], v[39:40]
	v_cmp_eq_u32_e64 s[66:67], 6, v28
	v_cmp_eq_u32_e64 s[68:69], 7, v28
	;; [unrolled: 1-line block ×3, first 2 shown]
	v_fma_f64 v[43:44], -v[39:40], v[41:42], 1.0
	v_fma_f64 v[41:42], v[41:42], v[43:44], v[41:42]
	v_div_scale_f64 v[43:44], vcc, v[33:34], v[37:38], v[33:34]
	v_fma_f64 v[45:46], -v[39:40], v[41:42], 1.0
	v_fma_f64 v[41:42], v[41:42], v[45:46], v[41:42]
	v_mul_f64 v[45:46], v[43:44], v[41:42]
	v_fma_f64 v[39:40], -v[39:40], v[45:46], v[43:44]
	v_cndmask_b32_e64 v43, v0, v2, s[8:9]
	v_cndmask_b32_e64 v43, v43, v4, s[10:11]
	;; [unrolled: 1-line block ×3, first 2 shown]
	s_waitcnt vmcnt(0)
	v_cmp_eq_u32_e64 s[80:81], 1, v24
	v_cmp_eq_u32_e64 s[82:83], 0, v24
	;; [unrolled: 1-line block ×4, first 2 shown]
	v_div_fmas_f64 v[39:40], v[39:40], v[41:42], v[45:46]
	v_cndmask_b32_e64 v41, v0, v2, s[54:55]
	v_cndmask_b32_e64 v42, v1, v3, s[8:9]
	;; [unrolled: 1-line block ×6, first 2 shown]
	v_cmp_eq_u32_e64 s[74:75], 4, v24
	v_mov_b32_e32 v45, 0
	v_cmp_eq_u32_e64 s[90:91], 5, v24
	v_cmp_eq_u32_e64 s[88:89], 6, v24
	;; [unrolled: 1-line block ×4, first 2 shown]
	v_div_fixup_f64 v[33:34], v[39:40], v[37:38], v[33:34]
	v_cndmask_b32_e64 v37, v41, v8, s[26:27]
	v_cndmask_b32_e64 v38, v42, v9, s[14:15]
	v_cndmask_b32_e64 v41, v37, v10, s[28:29]
	v_cndmask_b32_e64 v40, v38, v11, s[16:17]
	v_cndmask_b32_e64 v39, v43, v8, s[14:15]
	v_cndmask_b32_e64 v39, v39, v10, s[16:17]
	v_cndmask_b32_e64 v40, v40, v13, s[18:19]
	v_add_f64 v[37:38], -v[33:34], 1.0
	v_cndmask_b32_e64 v39, v39, v12, s[18:19]
	v_cndmask_b32_e64 v40, v40, v15, s[20:21]
	v_cndmask_b32_e64 v39, v39, v14, s[20:21]
	v_cndmask_b32_e64 v40, v40, v17, s[22:23]
	v_cndmask_b32_e64 v39, v39, v16, s[22:23]
	v_cndmask_b32_e64 v41, v41, v12, s[30:31]
	v_cndmask_b32_e64 v41, v41, v14, s[34:35]
	v_mul_f64 v[31:32], v[31:32], v[37:38]
	v_mul_f64 v[39:40], v[39:40], v[37:38]
	v_cndmask_b32_e64 v42, v29, v17, s[36:37]
	v_cndmask_b32_e64 v41, v41, v16, s[36:37]
	;; [unrolled: 1-line block ×3, first 2 shown]
	v_fma_f64 v[31:32], v[35:36], v[33:34], v[31:32]
	v_fma_f64 v[39:40], v[41:42], v[33:34], v[39:40]
	v_cndmask_b32_e64 v41, v29, v85, s[56:57]
	v_lshl_add_u32 v29, v24, 2, v45
	buffer_load_dword v29, v29, s[0:3], 0 offen offset:40
	v_cndmask_b32_e64 v79, v79, v32, s[80:81]
	v_cndmask_b32_e64 v83, v83, v32, s[82:83]
	;; [unrolled: 1-line block ×55, first 2 shown]
	v_add_f64 v[14:15], -v[30:31], 0
	v_add_f64 v[16:17], v[35:36], -v[30:31]
	v_cndmask_b32_e64 v107, v2, v39, s[80:81]
	v_cndmask_b32_e64 v2, v89, v87, s[8:9]
	;; [unrolled: 1-line block ×10, first 2 shown]
	v_div_scale_f64 v[43:44], vcc, v[16:17], v[16:17], v[14:15]
	v_cndmask_b32_e64 v2, v2, v84, s[10:11]
	v_cndmask_b32_e64 v2, v2, v18, s[12:13]
	;; [unrolled: 1-line block ×20, first 2 shown]
	v_mul_f64 v[41:42], v[37:38], v[41:42]
	v_cndmask_b32_e64 v0, v0, v84, s[56:57]
	v_cndmask_b32_e64 v0, v0, v18, s[24:25]
	;; [unrolled: 1-line block ×7, first 2 shown]
	v_fma_f64 v[12:13], v[33:34], v[12:13], v[41:42]
	v_cndmask_b32_e64 v41, v9, v40, s[74:75]
	v_rcp_f64_e32 v[8:9], v[43:44]
	v_cndmask_b32_e64 v11, v11, v40, s[90:91]
	v_cndmask_b32_e64 v42, v7, v40, s[76:77]
	;; [unrolled: 1-line block ×15, first 2 shown]
	v_fma_f64 v[0:1], -v[43:44], v[8:9], 1.0
	v_cndmask_b32_e64 v12, v3, v94, s[56:57]
	v_cndmask_b32_e64 v3, v99, v97, s[8:9]
	;; [unrolled: 1-line block ×7, first 2 shown]
	v_fma_f64 v[0:1], v[8:9], v[0:1], v[8:9]
	v_cndmask_b32_e64 v7, v7, v127, s[20:21]
	v_cndmask_b32_e64 v8, v7, v126, s[22:23]
	s_waitcnt vmcnt(0)
	v_lshl_add_u32 v7, v29, 2, v45
	v_div_scale_f64 v[5:6], vcc, v[14:15], v[16:17], v[14:15]
	buffer_load_dword v20, v7, s[0:3], 0 offen offset:40
	v_cndmask_b32_e64 v2, v99, v97, s[54:55]
	v_fma_f64 v[3:4], -v[43:44], v[0:1], 1.0
	v_cndmask_b32_e64 v2, v2, v95, s[56:57]
	v_cndmask_b32_e64 v2, v2, v101, s[24:25]
	v_cndmask_b32_e64 v2, v2, v103, s[26:27]
	v_cndmask_b32_e64 v2, v2, v129, s[28:29]
	v_cndmask_b32_e64 v2, v2, v128, s[30:31]
	v_cndmask_b32_e64 v2, v2, v127, s[34:35]
	v_cndmask_b32_e64 v2, v2, v126, s[36:37]
	v_fma_f64 v[3:4], v[0:1], v[3:4], v[0:1]
	v_cndmask_b32_e64 v0, v98, v96, s[8:9]
	v_cndmask_b32_e64 v0, v0, v94, s[10:11]
	;; [unrolled: 1-line block ×7, first 2 shown]
	v_mul_f64 v[9:10], v[5:6], v[3:4]
	v_cndmask_b32_e64 v7, v0, v130, s[22:23]
	v_mul_f64 v[7:8], v[7:8], v[37:38]
	v_cndmask_b32_e64 v0, v12, v100, s[24:25]
	v_cndmask_b32_e64 v0, v0, v102, s[26:27]
	;; [unrolled: 1-line block ×5, first 2 shown]
	v_fma_f64 v[5:6], -v[43:44], v[9:10], v[5:6]
	v_cndmask_b32_e64 v1, v0, v130, s[36:37]
	v_fma_f64 v[0:1], v[1:2], v[33:34], v[7:8]
	v_cndmask_b32_e64 v45, v87, v13, s[80:81]
	v_cndmask_b32_e64 v89, v89, v13, s[82:83]
	;; [unrolled: 1-line block ×5, first 2 shown]
	v_div_fmas_f64 v[2:3], v[5:6], v[3:4], v[9:10]
	v_cndmask_b32_e64 v120, v120, v13, s[90:91]
	v_cndmask_b32_e64 v130, v130, v0, s[84:85]
	v_cndmask_b32_e64 v131, v131, v0, s[86:87]
	v_cndmask_b32_e64 v132, v132, v0, s[88:89]
	v_cndmask_b32_e64 v133, v133, v0, s[90:91]
	v_cndmask_b32_e64 v102, v102, v0, s[74:75]
	v_cndmask_b32_e64 v100, v100, v0, s[76:77]
	v_cndmask_b32_e64 v94, v94, v0, s[78:79]
	v_cndmask_b32_e64 v96, v96, v0, s[80:81]
	v_cndmask_b32_e64 v98, v98, v0, s[82:83]
	v_cndmask_b32_e64 v0, v40, v138, s[72:73]
	v_cndmask_b32_e64 v0, v0, v137, s[58:59]
	v_cndmask_b32_e64 v0, v0, v42, s[60:61]
	v_cndmask_b32_e64 v0, v0, v41, s[62:63]
	v_cndmask_b32_e64 v0, v0, v11, s[64:65]
	v_div_fixup_f64 v[32:33], v[2:3], v[16:17], v[14:15]
	v_cndmask_b32_e64 v2, v40, v138, s[38:39]
	v_cndmask_b32_e64 v2, v2, v137, s[40:41]
	;; [unrolled: 1-line block ×9, first 2 shown]
	v_add_f64 v[37:38], -v[32:33], 1.0
	v_cndmask_b32_e64 v2, v2, v106, s[40:41]
	v_cndmask_b32_e64 v2, v2, v105, s[42:43]
	;; [unrolled: 1-line block ×11, first 2 shown]
	v_mul_f64 v[4:5], v[4:5], v[37:38]
	v_cndmask_b32_e64 v0, v0, v106, s[58:59]
	v_cndmask_b32_e64 v0, v0, v105, s[60:61]
	;; [unrolled: 1-line block ×11, first 2 shown]
	v_fma_f64 v[18:19], v[2:3], v[32:33], v[4:5]
	v_cndmask_b32_e64 v103, v103, v1, s[74:75]
	v_cndmask_b32_e64 v101, v101, v1, s[76:77]
	;; [unrolled: 1-line block ×5, first 2 shown]
	v_mul_f64 v[0:1], v[30:31], v[37:38]
	v_cndmask_b32_e64 v30, v89, v45, s[38:39]
	v_cndmask_b32_e64 v30, v30, v44, s[40:41]
	;; [unrolled: 1-line block ×10, first 2 shown]
	v_cmp_eq_u32_e32 vcc, 8, v29
	v_cmp_eq_u32_e64 s[8:9], 7, v29
	v_cmp_eq_u32_e64 s[10:11], 6, v29
	;; [unrolled: 1-line block ×8, first 2 shown]
	v_cndmask_b32_e64 v31, v30, v118, s[52:53]
	v_cndmask_b32_e64 v30, v88, v86, s[38:39]
	s_waitcnt vmcnt(0)
	buffer_store_dword v20, off, s[0:3], 0 offset:84
	v_cndmask_b32_e32 v16, v46, v18, vcc
	v_cndmask_b32_e64 v14, v47, v18, s[8:9]
	v_cndmask_b32_e64 v12, v48, v18, s[10:11]
	v_cndmask_b32_e64 v10, v49, v18, s[12:13]
	v_cndmask_b32_e64 v8, v104, v18, s[14:15]
	v_cndmask_b32_e64 v6, v105, v18, s[16:17]
	v_fma_f64 v[20:21], v[35:36], v[32:33], v[0:1]
	v_cndmask_b32_e64 v4, v106, v18, s[18:19]
	v_cndmask_b32_e64 v2, v107, v18, s[20:21]
	;; [unrolled: 1-line block ×17, first 2 shown]
	v_cndmask_b32_e32 v17, v134, v19, vcc
	v_cndmask_b32_e64 v15, v135, v19, s[8:9]
	v_cndmask_b32_e64 v13, v136, v19, s[10:11]
	;; [unrolled: 1-line block ×10, first 2 shown]
	v_mul_f64 v[30:31], v[37:38], v[30:31]
	v_cndmask_b32_e64 v18, v18, v84, s[58:59]
	v_cndmask_b32_e64 v18, v18, v140, s[60:61]
	;; [unrolled: 1-line block ×7, first 2 shown]
	v_fma_f64 v[30:31], v[32:33], v[18:19], v[30:31]
	v_cndmask_b32_e32 v111, v111, v21, vcc
	v_cndmask_b32_e64 v112, v112, v21, s[8:9]
	v_cndmask_b32_e64 v113, v113, v21, s[10:11]
	;; [unrolled: 1-line block ×34, first 2 shown]
	v_mul_f64 v[36:37], v[39:40], v[37:38]
	v_cndmask_b32_e64 v18, v18, v94, s[58:59]
	v_cndmask_b32_e64 v18, v18, v100, s[60:61]
	;; [unrolled: 1-line block ×7, first 2 shown]
	v_fma_f64 v[32:33], v[34:35], v[32:33], v[36:37]
	v_cndmask_b32_e32 v115, v115, v20, vcc
	v_cndmask_b32_e64 v114, v114, v20, s[8:9]
	v_cndmask_b32_e64 v116, v116, v20, s[10:11]
	;; [unrolled: 1-line block ×8, first 2 shown]
	v_cndmask_b32_e32 v118, v118, v31, vcc
	v_cndmask_b32_e32 v121, v121, v30, vcc
	v_cndmask_b32_e64 v119, v119, v31, s[8:9]
	v_cndmask_b32_e64 v122, v122, v30, s[8:9]
	;; [unrolled: 1-line block ×15, first 2 shown]
	v_cndmask_b32_e32 v126, v126, v33, vcc
	v_cndmask_b32_e32 v130, v130, v32, vcc
	v_cndmask_b32_e64 v127, v127, v33, s[8:9]
	v_cndmask_b32_e64 v131, v131, v32, s[8:9]
	;; [unrolled: 1-line block ×16, first 2 shown]
.LBB4_43:
	s_or_b64 exec, exec, s[98:99]
	buffer_store_dword v25, off, s[0:3], 0 offset:80
	s_and_saveexec_b64 s[22:23], s[4:5]
	s_cbranch_execz .LBB4_52
; %bb.44:
	s_mov_b64 s[24:25], 0
	v_mov_b32_e32 v25, 0
	s_branch .LBB4_46
.LBB4_45:                               ;   in Loop: Header=BB4_46 Depth=1
	s_or_b64 exec, exec, s[10:11]
	s_waitcnt vmcnt(0)
	v_cmp_gt_i32_e32 vcc, 0, v30
	s_or_b64 s[24:25], vcc, s[24:25]
	v_mov_b32_e32 v27, v30
	s_andn2_b64 exec, exec, s[24:25]
	s_cbranch_execz .LBB4_52
.LBB4_46:                               ; =>This Inner Loop Header: Depth=1
	v_lshl_add_u32 v31, v27, 2, v25
	buffer_load_dword v30, v31, s[0:3], 0 offen offset:40
	v_cmp_eq_u32_e32 vcc, 1, v27
	v_cndmask_b32_e32 v32, v83, v79, vcc
	v_cmp_eq_u32_e64 s[8:9], 2, v27
	v_cndmask_b32_e64 v32, v32, v81, s[8:9]
	v_cmp_eq_u32_e64 s[10:11], 3, v27
	v_cndmask_b32_e64 v32, v32, v91, s[10:11]
	;; [unrolled: 2-line block ×7, first 2 shown]
	v_cndmask_b32_e32 v32, v82, v78, vcc
	v_cndmask_b32_e64 v32, v32, v80, s[8:9]
	v_cndmask_b32_e64 v32, v32, v90, s[10:11]
	;; [unrolled: 1-line block ×7, first 2 shown]
	v_cmp_ngt_f64_e32 vcc, 0, v[32:33]
	s_mov_b64 s[8:9], 0
	s_and_saveexec_b64 s[10:11], vcc
	s_xor_b64 s[10:11], exec, s[10:11]
	s_cbranch_execnz .LBB4_49
; %bb.47:                               ;   in Loop: Header=BB4_46 Depth=1
	s_or_saveexec_b64 s[10:11], s[10:11]
	v_mov_b32_e32 v32, 0x50
	s_xor_b64 exec, exec, s[10:11]
	s_cbranch_execnz .LBB4_50
.LBB4_48:                               ;   in Loop: Header=BB4_46 Depth=1
	s_or_b64 exec, exec, s[10:11]
	s_and_saveexec_b64 s[10:11], s[8:9]
	s_cbranch_execz .LBB4_45
	s_branch .LBB4_51
.LBB4_49:                               ;   in Loop: Header=BB4_46 Depth=1
	buffer_load_dword v31, off, s[0:3], 0 offset:80
	s_waitcnt vmcnt(0)
	v_cmp_eq_u32_e32 vcc, -1, v31
	s_and_b64 s[8:9], vcc, exec
                                        ; implicit-def: $vgpr31
	s_or_saveexec_b64 s[10:11], s[10:11]
	v_mov_b32_e32 v32, 0x50
	s_xor_b64 exec, exec, s[10:11]
	s_cbranch_execz .LBB4_48
.LBB4_50:                               ;   in Loop: Header=BB4_46 Depth=1
	buffer_load_dword v33, off, s[0:3], 0 offset:84
	v_mov_b32_e32 v32, 0x54
	s_or_b64 s[8:9], s[8:9], exec
	s_waitcnt vmcnt(0)
	buffer_store_dword v33, v31, s[0:3], 0 offen offset:40
	s_or_b64 exec, exec, s[10:11]
	s_and_saveexec_b64 s[10:11], s[8:9]
	s_cbranch_execz .LBB4_45
.LBB4_51:                               ;   in Loop: Header=BB4_46 Depth=1
	buffer_store_dword v27, v32, s[0:3], 0 offen
	s_branch .LBB4_45
.LBB4_52:
	s_or_b64 exec, exec, s[22:23]
	s_and_saveexec_b64 s[8:9], s[6:7]
	s_cbranch_execz .LBB4_54
; %bb.53:
	v_cmp_gt_f64_e32 vcc, 0, v[22:23]
	v_mov_b32_e32 v22, 0
	v_lshl_add_u32 v23, v26, 2, v22
	v_lshl_add_u32 v25, v24, 2, v22
	;; [unrolled: 1-line block ×3, first 2 shown]
	buffer_store_dword v24, v23, s[0:3], 0 offen offset:40
	s_and_b64 s[4:5], s[4:5], vcc
	s_or_b64 s[4:5], s[96:97], s[4:5]
	v_cndmask_b32_e64 v23, v28, -1, s[4:5]
	buffer_store_dword v29, v25, s[0:3], 0 offen offset:40
	buffer_store_dword v23, v22, s[0:3], 0 offen offset:40
.LBB4_54:
	s_or_b64 exec, exec, s[8:9]
	buffer_load_dword v28, off, s[0:3], 0 offset:80
	v_mov_b32_e32 v22, 0
	v_mov_b32_e32 v23, 0
	s_waitcnt vmcnt(0)
	v_cmp_lt_i32_e64 s[4:5], -1, v28
	s_and_saveexec_b64 s[20:21], s[4:5]
	s_cbranch_execz .LBB4_56
; %bb.55:
	v_cmp_eq_u32_e32 vcc, 1, v28
	v_cndmask_b32_e32 v22, v89, v87, vcc
	v_cmp_eq_u32_e64 s[6:7], 2, v28
	v_cndmask_b32_e64 v22, v22, v85, s[6:7]
	v_cmp_eq_u32_e64 s[8:9], 3, v28
	v_cndmask_b32_e64 v22, v22, v19, s[8:9]
	;; [unrolled: 2-line block ×7, first 2 shown]
	v_cndmask_b32_e32 v22, v88, v86, vcc
	v_cndmask_b32_e64 v22, v22, v84, s[6:7]
	v_cndmask_b32_e64 v22, v22, v18, s[8:9]
	;; [unrolled: 1-line block ×7, first 2 shown]
.LBB4_56:
	s_or_b64 exec, exec, s[20:21]
	v_mov_b32_e32 v25, v23
	v_mov_b32_e32 v29, -1
	v_mov_b32_e32 v38, -1
	;; [unrolled: 1-line block ×3, first 2 shown]
	v_mov_b32_e32 v24, v22
	v_mov_b32_e32 v30, -1
	s_and_saveexec_b64 s[14:15], s[4:5]
	s_cbranch_execz .LBB4_60
; %bb.57:
	v_mov_b32_e32 v27, v23
	v_mov_b32_e32 v29, -1
	s_mov_b64 s[16:17], 0
	v_mov_b32_e32 v31, 0
	v_mov_b32_e32 v33, v28
	v_mov_b32_e32 v38, -1
	v_mov_b32_e32 v32, -1
	;; [unrolled: 1-line block ×3, first 2 shown]
	v_mov_b32_e32 v26, v22
.LBB4_58:                               ; =>This Inner Loop Header: Depth=1
	v_lshl_add_u32 v24, v33, 2, v31
	buffer_load_dword v34, v24, s[0:3], 0 offen offset:40
	v_mov_b32_e32 v24, v26
	v_mov_b32_e32 v25, v27
	v_cmp_le_f64_e32 vcc, 0, v[24:25]
	s_waitcnt vmcnt(0)
	v_cmp_gt_i32_e64 s[6:7], 0, v34
	v_cndmask_b32_e64 v35, v34, v28, s[6:7]
	v_cmp_eq_u32_e64 s[8:9], 1, v35
	v_cndmask_b32_e64 v26, v89, v87, s[8:9]
	v_cmp_eq_u32_e64 s[10:11], 2, v35
	v_cndmask_b32_e64 v26, v26, v85, s[10:11]
	v_cndmask_b32_e64 v27, v88, v86, s[8:9]
	v_cmp_eq_u32_e64 s[8:9], 3, v35
	v_cndmask_b32_e64 v26, v26, v19, s[8:9]
	v_cndmask_b32_e64 v27, v27, v84, s[10:11]
	v_cmp_eq_u32_e64 s[10:11], 4, v35
	v_cndmask_b32_e64 v26, v26, v21, s[10:11]
	v_cndmask_b32_e64 v27, v27, v18, s[8:9]
	v_cmp_eq_u32_e64 s[8:9], 5, v35
	v_cndmask_b32_e64 v26, v26, v120, s[8:9]
	v_cndmask_b32_e64 v27, v27, v20, s[10:11]
	v_cmp_eq_u32_e64 s[10:11], 6, v35
	v_cndmask_b32_e64 v26, v26, v123, s[10:11]
	v_cndmask_b32_e64 v27, v27, v125, s[8:9]
	v_cmp_eq_u32_e64 s[8:9], 7, v35
	v_cndmask_b32_e64 v26, v26, v119, s[8:9]
	v_cndmask_b32_e64 v36, v27, v124, s[10:11]
	v_cmp_eq_u32_e64 s[10:11], 8, v35
	v_cndmask_b32_e64 v27, v26, v118, s[10:11]
	v_cndmask_b32_e64 v26, v36, v122, s[8:9]
	v_cndmask_b32_e64 v26, v26, v121, s[10:11]
	v_cmp_gt_f64_e64 s[8:9], 0, v[26:27]
	v_cmp_gt_f64_e64 s[10:11], 0, v[24:25]
	v_cmp_le_f64_e64 s[12:13], 0, v[26:27]
	s_and_b64 vcc, vcc, s[8:9]
	v_cndmask_b32_e32 v32, v32, v35, vcc
	s_and_b64 s[8:9], s[10:11], s[12:13]
	v_cndmask_b32_e64 v30, v30, v35, s[8:9]
	v_cndmask_b32_e32 v29, v29, v33, vcc
	v_cndmask_b32_e64 v38, v38, v33, s[8:9]
	s_or_b64 s[16:17], s[6:7], s[16:17]
	v_mov_b32_e32 v33, v34
	s_andn2_b64 exec, exec, s[16:17]
	s_cbranch_execnz .LBB4_58
; %bb.59:
	s_or_b64 exec, exec, s[16:17]
.LBB4_60:
	s_or_b64 exec, exec, s[14:15]
	v_mov_b32_e32 v27, -1
	v_cmp_lt_i32_e64 s[6:7], -1, v29
	v_mov_b32_e32 v26, -1
	v_mov_b32_e32 v31, -1
	s_and_saveexec_b64 s[96:97], s[6:7]
	s_cbranch_execz .LBB4_62
; %bb.61:
	v_cmp_eq_u32_e64 s[8:9], 1, v32
	v_cndmask_b32_e64 v26, v89, v87, s[8:9]
	v_cmp_eq_u32_e64 s[10:11], 2, v32
	v_cndmask_b32_e64 v26, v26, v85, s[10:11]
	;; [unrolled: 2-line block ×8, first 2 shown]
	v_cndmask_b32_e64 v26, v88, v86, s[8:9]
	v_cndmask_b32_e64 v26, v26, v84, s[10:11]
	;; [unrolled: 1-line block ×7, first 2 shown]
	v_cmp_eq_u32_e64 s[54:55], 1, v29
	v_cndmask_b32_e64 v31, v26, v121, s[22:23]
	v_cndmask_b32_e64 v26, v89, v87, s[54:55]
	v_cmp_eq_u32_e64 s[58:59], 2, v29
	v_cndmask_b32_e64 v26, v26, v85, s[58:59]
	v_cmp_eq_u32_e64 s[24:25], 3, v29
	;; [unrolled: 2-line block ×7, first 2 shown]
	v_cndmask_b32_e64 v36, v26, v118, s[36:37]
	v_cndmask_b32_e64 v26, v88, v86, s[54:55]
	;; [unrolled: 1-line block ×9, first 2 shown]
	v_add_f64 v[33:34], -v[31:32], 0
	v_add_f64 v[39:40], v[35:36], -v[31:32]
	buffer_load_dword v26, off, s[0:3], 0 offset:84
	v_cndmask_b32_e64 v37, v1, v3, s[54:55]
	v_cndmask_b32_e64 v105, v1, v3, s[8:9]
	;; [unrolled: 1-line block ×6, first 2 shown]
	v_div_scale_f64 v[41:42], s[38:39], v[39:40], v[39:40], v[33:34]
	v_cndmask_b32_e64 v37, v37, v7, s[24:25]
	v_cndmask_b32_e64 v37, v37, v9, s[26:27]
	v_cmp_eq_u32_e64 s[38:39], 1, v38
	v_cmp_eq_u32_e64 s[40:41], 2, v38
	;; [unrolled: 1-line block ×12, first 2 shown]
	v_rcp_f64_e32 v[43:44], v[41:42]
	v_mov_b32_e32 v104, 0
	v_cmp_eq_u32_e64 s[64:65], 5, v30
	v_cmp_eq_u32_e64 s[66:67], 6, v30
	;; [unrolled: 1-line block ×4, first 2 shown]
	v_cndmask_b32_e64 v106, v82, v78, s[54:55]
	v_fma_f64 v[45:46], -v[41:42], v[43:44], 1.0
	v_fma_f64 v[43:44], v[43:44], v[45:46], v[43:44]
	v_div_scale_f64 v[45:46], vcc, v[33:34], v[39:40], v[33:34]
	v_fma_f64 v[47:48], -v[41:42], v[43:44], 1.0
	v_fma_f64 v[43:44], v[43:44], v[47:48], v[43:44]
	v_mul_f64 v[47:48], v[45:46], v[43:44]
	v_fma_f64 v[41:42], -v[41:42], v[47:48], v[45:46]
	v_cndmask_b32_e64 v45, v0, v2, s[8:9]
	v_cndmask_b32_e64 v46, v83, v79, s[54:55]
	s_waitcnt vmcnt(0)
	v_cmp_eq_u32_e64 s[80:81], 1, v26
	v_cmp_eq_u32_e64 s[82:83], 0, v26
	;; [unrolled: 1-line block ×5, first 2 shown]
	v_div_fmas_f64 v[41:42], v[41:42], v[43:44], v[47:48]
	v_cndmask_b32_e64 v43, v105, v5, s[10:11]
	v_cndmask_b32_e64 v44, v45, v4, s[10:11]
	;; [unrolled: 1-line block ×15, first 2 shown]
	v_div_fixup_f64 v[39:40], v[41:42], v[39:40], v[33:34]
	v_cndmask_b32_e64 v33, v46, v93, s[14:15]
	v_cndmask_b32_e64 v34, v37, v11, s[28:29]
	;; [unrolled: 1-line block ×7, first 2 shown]
	v_add_f64 v[41:42], -v[39:40], 1.0
	v_cndmask_b32_e64 v45, v45, v110, s[28:29]
	v_cndmask_b32_e64 v33, v33, v15, s[20:21]
	;; [unrolled: 1-line block ×7, first 2 shown]
	v_mul_f64 v[45:46], v[31:32], v[41:42]
	v_mul_f64 v[33:34], v[33:34], v[41:42]
	v_cndmask_b32_e64 v37, v37, v12, s[30:31]
	v_cndmask_b32_e64 v37, v37, v14, s[34:35]
	;; [unrolled: 1-line block ×4, first 2 shown]
	v_cmp_eq_u32_e64 s[90:91], 5, v26
	v_cmp_eq_u32_e64 s[88:89], 6, v26
	v_fma_f64 v[45:46], v[35:36], v[39:40], v[45:46]
	v_fma_f64 v[43:44], v[43:44], v[39:40], v[33:34]
	v_cmp_eq_u32_e64 s[86:87], 7, v26
	v_cmp_eq_u32_e64 s[84:85], 8, v26
	v_cndmask_b32_e64 v31, v48, v112, s[34:35]
	v_cndmask_b32_e64 v105, v47, v113, s[18:19]
	v_cndmask_b32_e64 v47, v31, v111, s[36:37]
	v_lshl_add_u32 v31, v26, 2, v104
	v_cndmask_b32_e64 v36, v87, v46, s[80:81]
	v_cndmask_b32_e64 v35, v89, v46, s[82:83]
	;; [unrolled: 1-line block ×40, first 2 shown]
	buffer_load_dword v31, v31, s[0:3], 0 offen offset:40
	v_cndmask_b32_e64 v0, v0, v123, s[66:67]
	v_cndmask_b32_e64 v0, v0, v88, s[68:69]
	;; [unrolled: 1-line block ×15, first 2 shown]
	v_add_f64 v[12:13], -v[19:20], 0
	v_add_f64 v[14:15], v[48:49], -v[19:20]
	v_cndmask_b32_e64 v137, v8, v43, s[74:75]
	v_cndmask_b32_e64 v45, v9, v44, s[74:75]
	;; [unrolled: 1-line block ×7, first 2 shown]
	v_div_scale_f64 v[84:85], s[98:99], v[14:15], v[14:15], v[12:13]
	v_cndmask_b32_e64 v0, v0, v90, s[12:13]
	v_cndmask_b32_e64 v0, v0, v92, s[14:15]
	;; [unrolled: 1-line block ×12, first 2 shown]
	v_mul_f64 v[16:17], v[16:17], v[41:42]
	v_cndmask_b32_e64 v0, v0, v114, s[34:35]
	v_rcp_f64_e32 v[8:9], v[84:85]
	v_cndmask_b32_e64 v46, v0, v115, s[36:37]
	v_cndmask_b32_e64 v89, v1, v44, s[82:83]
	;; [unrolled: 1-line block ×5, first 2 shown]
	v_fma_f64 v[16:17], v[46:47], v[39:40], v[16:17]
	v_cndmask_b32_e64 v139, v4, v43, s[78:79]
	v_cndmask_b32_e64 v46, v7, v44, s[76:77]
	;; [unrolled: 1-line block ×3, first 2 shown]
	v_div_scale_f64 v[5:6], vcc, v[12:13], v[14:15], v[12:13]
	v_cndmask_b32_e64 v11, v11, v44, s[90:91]
	v_cndmask_b32_e64 v136, v10, v43, s[90:91]
	;; [unrolled: 1-line block ×4, first 2 shown]
	v_fma_f64 v[0:1], -v[84:85], v[8:9], 1.0
	v_cndmask_b32_e64 v116, v116, v16, s[88:89]
	v_cndmask_b32_e64 v117, v117, v16, s[90:91]
	;; [unrolled: 1-line block ×7, first 2 shown]
	v_fma_f64 v[0:1], v[8:9], v[0:1], v[8:9]
	v_cndmask_b32_e64 v16, v3, v94, s[58:59]
	v_cndmask_b32_e64 v3, v99, v97, s[8:9]
	;; [unrolled: 1-line block ×7, first 2 shown]
	v_fma_f64 v[3:4], -v[84:85], v[0:1], 1.0
	v_cndmask_b32_e64 v7, v7, v127, s[20:21]
	v_cndmask_b32_e64 v8, v7, v126, s[22:23]
	;; [unrolled: 1-line block ×6, first 2 shown]
	s_waitcnt vmcnt(0)
	v_lshl_add_u32 v7, v31, 2, v104
	v_fma_f64 v[3:4], v[0:1], v[3:4], v[0:1]
	buffer_load_dword v44, v7, s[0:3], 0 offen offset:40
	v_cndmask_b32_e64 v0, v98, v96, s[8:9]
	v_cndmask_b32_e64 v0, v0, v94, s[10:11]
	;; [unrolled: 1-line block ×6, first 2 shown]
	v_mul_f64 v[9:10], v[5:6], v[3:4]
	v_cndmask_b32_e64 v0, v0, v131, s[20:21]
	v_cndmask_b32_e64 v7, v0, v130, s[22:23]
	v_mul_f64 v[7:8], v[7:8], v[41:42]
	v_cndmask_b32_e64 v0, v16, v100, s[24:25]
	v_cndmask_b32_e64 v2, v2, v103, s[26:27]
	;; [unrolled: 1-line block ×4, first 2 shown]
	v_fma_f64 v[5:6], -v[84:85], v[9:10], v[5:6]
	v_cndmask_b32_e64 v0, v0, v133, s[28:29]
	v_cndmask_b32_e64 v2, v2, v128, s[30:31]
	;; [unrolled: 1-line block ×7, first 2 shown]
	v_fma_f64 v[0:1], v[1:2], v[39:40], v[7:8]
	v_div_fmas_f64 v[2:3], v[5:6], v[3:4], v[9:10]
	v_cndmask_b32_e64 v79, v79, v17, s[80:81]
	v_cndmask_b32_e64 v83, v83, v17, s[82:83]
	;; [unrolled: 1-line block ×15, first 2 shown]
	v_div_fixup_f64 v[38:39], v[2:3], v[14:15], v[12:13]
	v_cndmask_b32_e64 v2, v89, v87, s[38:39]
	v_cndmask_b32_e64 v2, v2, v47, s[40:41]
	;; [unrolled: 1-line block ×9, first 2 shown]
	v_add_f64 v[40:41], -v[38:39], 1.0
	v_cndmask_b32_e64 v0, v89, v87, s[72:73]
	v_cndmask_b32_e64 v2, v2, v139, s[40:41]
	;; [unrolled: 1-line block ×16, first 2 shown]
	v_mul_f64 v[4:5], v[4:5], v[40:41]
	v_cndmask_b32_e64 v0, v0, v139, s[56:57]
	v_cndmask_b32_e64 v0, v0, v138, s[60:61]
	;; [unrolled: 1-line block ×7, first 2 shown]
	v_fma_f64 v[42:43], v[2:3], v[38:39], v[4:5]
	v_cndmask_b32_e64 v2, v83, v79, s[38:39]
	v_cndmask_b32_e64 v2, v2, v81, s[40:41]
	;; [unrolled: 1-line block ×37, first 2 shown]
	v_mul_f64 v[2:3], v[2:3], v[40:41]
	v_cndmask_b32_e64 v0, v0, v80, s[56:57]
	v_cndmask_b32_e64 v0, v0, v90, s[60:61]
	;; [unrolled: 1-line block ×6, first 2 shown]
	v_cmp_eq_u32_e64 s[14:15], 4, v31
	v_cmp_eq_u32_e64 s[16:17], 3, v31
	v_cndmask_b32_e64 v0, v0, v105, s[70:71]
	s_waitcnt vmcnt(0)
	buffer_store_dword v44, off, s[0:3], 0 offset:84
	v_cndmask_b32_e64 v9, v45, v43, s[14:15]
	v_cndmask_b32_e64 v7, v46, v43, s[16:17]
	v_fma_f64 v[44:45], v[38:39], v[0:1], v[2:3]
	v_cndmask_b32_e64 v46, v99, v97, s[38:39]
	v_cndmask_b32_e64 v46, v46, v95, s[40:41]
	v_cndmask_b32_e64 v46, v46, v101, s[42:43]
	v_cndmask_b32_e64 v46, v46, v103, s[44:45]
	v_cndmask_b32_e64 v46, v46, v129, s[46:47]
	v_cndmask_b32_e64 v46, v46, v128, s[48:49]
	v_cmp_eq_u32_e64 s[18:19], 2, v31
	v_cndmask_b32_e64 v46, v46, v127, s[50:51]
	v_cmp_eq_u32_e32 vcc, 8, v31
	v_cmp_eq_u32_e64 s[8:9], 7, v31
	v_cmp_eq_u32_e64 s[10:11], 6, v31
	;; [unrolled: 1-line block ×3, first 2 shown]
	v_cndmask_b32_e64 v5, v47, v43, s[18:19]
	v_cmp_eq_u32_e64 s[20:21], 1, v31
	v_cmp_eq_u32_e64 s[22:23], 0, v31
	v_cndmask_b32_e64 v47, v46, v126, s[52:53]
	v_cndmask_b32_e64 v46, v98, v96, s[38:39]
	v_cndmask_b32_e32 v115, v105, v44, vcc
	v_cndmask_b32_e64 v114, v106, v44, s[8:9]
	v_cndmask_b32_e64 v116, v116, v44, s[10:11]
	;; [unrolled: 1-line block ×22, first 2 shown]
	v_cndmask_b32_e32 v111, v111, v45, vcc
	v_cndmask_b32_e64 v112, v112, v45, s[8:9]
	v_mul_f64 v[19:20], v[19:20], v[40:41]
	v_cndmask_b32_e64 v113, v113, v45, s[10:11]
	v_cndmask_b32_e64 v110, v110, v45, s[12:13]
	;; [unrolled: 1-line block ×9, first 2 shown]
	v_mul_f64 v[40:41], v[46:47], v[40:41]
	v_cndmask_b32_e64 v44, v44, v94, s[56:57]
	v_cndmask_b32_e64 v44, v44, v100, s[60:61]
	;; [unrolled: 1-line block ×7, first 2 shown]
	v_cndmask_b32_e32 v17, v142, v43, vcc
	v_cndmask_b32_e32 v16, v107, v42, vcc
	v_cndmask_b32_e64 v15, v143, v43, s[8:9]
	v_cndmask_b32_e64 v14, v134, v42, s[8:9]
	;; [unrolled: 1-line block ×13, first 2 shown]
	v_fma_f64 v[42:43], v[48:49], v[38:39], v[19:20]
	v_fma_f64 v[38:39], v[38:39], v[44:45], v[40:41]
	v_cndmask_b32_e32 v118, v86, v43, vcc
	v_cndmask_b32_e32 v121, v121, v42, vcc
	v_cndmask_b32_e64 v119, v88, v43, s[8:9]
	v_cndmask_b32_e64 v122, v122, v42, s[8:9]
	v_cndmask_b32_e64 v123, v123, v43, s[10:11]
	v_cndmask_b32_e64 v124, v124, v42, s[10:11]
	v_cndmask_b32_e64 v120, v120, v43, s[12:13]
	v_cndmask_b32_e64 v125, v125, v42, s[12:13]
	v_cndmask_b32_e64 v21, v21, v43, s[14:15]
	v_cndmask_b32_e64 v20, v145, v42, s[14:15]
	v_cndmask_b32_e64 v19, v146, v43, s[16:17]
	v_cndmask_b32_e64 v18, v18, v42, s[16:17]
	v_cndmask_b32_e64 v85, v37, v43, s[18:19]
	v_cndmask_b32_e64 v84, v34, v42, s[18:19]
	v_cndmask_b32_e64 v87, v36, v43, s[20:21]
	v_cndmask_b32_e64 v86, v33, v42, s[20:21]
	v_cndmask_b32_e64 v89, v35, v43, s[22:23]
	v_cndmask_b32_e64 v88, v32, v42, s[22:23]
	v_cndmask_b32_e32 v126, v126, v39, vcc
	v_cndmask_b32_e32 v130, v104, v38, vcc
	v_cndmask_b32_e64 v127, v127, v39, s[8:9]
	v_cndmask_b32_e64 v131, v131, v38, s[8:9]
	;; [unrolled: 1-line block ×16, first 2 shown]
.LBB4_62:
	s_or_b64 exec, exec, s[96:97]
	buffer_store_dword v27, off, s[0:3], 0 offset:80
	s_and_saveexec_b64 s[20:21], s[4:5]
	s_cbranch_execz .LBB4_71
; %bb.63:
	s_mov_b64 s[22:23], 0
	v_mov_b32_e32 v27, 0
	s_branch .LBB4_65
.LBB4_64:                               ;   in Loop: Header=BB4_65 Depth=1
	s_or_b64 exec, exec, s[8:9]
	s_waitcnt vmcnt(0)
	v_cmp_gt_i32_e32 vcc, 0, v32
	s_or_b64 s[22:23], vcc, s[22:23]
	v_mov_b32_e32 v28, v32
	s_andn2_b64 exec, exec, s[22:23]
	s_cbranch_execz .LBB4_71
.LBB4_65:                               ; =>This Inner Loop Header: Depth=1
	v_lshl_add_u32 v33, v28, 2, v27
	buffer_load_dword v32, v33, s[0:3], 0 offen offset:40
	v_cmp_eq_u32_e32 vcc, 1, v28
	v_cndmask_b32_e32 v34, v89, v87, vcc
	v_cmp_eq_u32_e64 s[4:5], 2, v28
	v_cndmask_b32_e64 v34, v34, v85, s[4:5]
	v_cmp_eq_u32_e64 s[8:9], 3, v28
	v_cndmask_b32_e64 v34, v34, v19, s[8:9]
	;; [unrolled: 2-line block ×7, first 2 shown]
	v_cndmask_b32_e32 v34, v88, v86, vcc
	v_cndmask_b32_e64 v34, v34, v84, s[4:5]
	v_cndmask_b32_e64 v34, v34, v18, s[8:9]
	;; [unrolled: 1-line block ×7, first 2 shown]
	v_cmp_ngt_f64_e32 vcc, 0, v[34:35]
	s_mov_b64 s[4:5], 0
	s_and_saveexec_b64 s[8:9], vcc
	s_xor_b64 s[8:9], exec, s[8:9]
	s_cbranch_execnz .LBB4_68
; %bb.66:                               ;   in Loop: Header=BB4_65 Depth=1
	s_or_saveexec_b64 s[8:9], s[8:9]
	v_mov_b32_e32 v34, 0x50
	s_xor_b64 exec, exec, s[8:9]
	s_cbranch_execnz .LBB4_69
.LBB4_67:                               ;   in Loop: Header=BB4_65 Depth=1
	s_or_b64 exec, exec, s[8:9]
	s_and_saveexec_b64 s[8:9], s[4:5]
	s_cbranch_execz .LBB4_64
	s_branch .LBB4_70
.LBB4_68:                               ;   in Loop: Header=BB4_65 Depth=1
	buffer_load_dword v33, off, s[0:3], 0 offset:80
	s_waitcnt vmcnt(0)
	v_cmp_eq_u32_e32 vcc, -1, v33
	s_and_b64 s[4:5], vcc, exec
                                        ; implicit-def: $vgpr33
	s_or_saveexec_b64 s[8:9], s[8:9]
	v_mov_b32_e32 v34, 0x50
	s_xor_b64 exec, exec, s[8:9]
	s_cbranch_execz .LBB4_67
.LBB4_69:                               ;   in Loop: Header=BB4_65 Depth=1
	buffer_load_dword v35, off, s[0:3], 0 offset:84
	v_mov_b32_e32 v34, 0x54
	s_or_b64 s[4:5], s[4:5], exec
	s_waitcnt vmcnt(0)
	buffer_store_dword v35, v33, s[0:3], 0 offen offset:40
	s_or_b64 exec, exec, s[8:9]
	s_and_saveexec_b64 s[8:9], s[4:5]
	s_cbranch_execz .LBB4_64
.LBB4_70:                               ;   in Loop: Header=BB4_65 Depth=1
	buffer_store_dword v28, v34, s[0:3], 0 offen
	s_branch .LBB4_64
.LBB4_71:
	s_or_b64 exec, exec, s[20:21]
	s_and_saveexec_b64 s[4:5], s[6:7]
	s_cbranch_execz .LBB4_73
; %bb.72:
	v_max_f64 v[22:23], v[22:23], v[22:23]
	v_max_f64 v[24:25], v[24:25], v[24:25]
	v_min_f64 v[22:23], v[24:25], v[22:23]
	v_mov_b32_e32 v24, 0
	v_lshl_add_u32 v25, v29, 2, v24
	v_lshl_add_u32 v27, v26, 2, v24
	;; [unrolled: 1-line block ×3, first 2 shown]
	buffer_store_dword v26, v25, s[0:3], 0 offen offset:40
	v_cmp_ngt_f64_e32 vcc, 0, v[22:23]
	v_cndmask_b32_e32 v22, -1, v30, vcc
	buffer_store_dword v31, v27, s[0:3], 0 offen offset:40
	buffer_store_dword v22, v24, s[0:3], 0 offen offset:40
.LBB4_73:
	s_or_b64 exec, exec, s[4:5]
	buffer_load_dword v134, off, s[0:3], 0 offset:80
	buffer_load_dword v135, off, s[0:3], 0 offset:84
	;; [unrolled: 1-line block ×11, first 2 shown]
	v_mov_b32_e32 v26, -1
	s_mov_b64 s[96:97], 0
	v_mov_b32_e32 v28, -1
	v_mov_b32_e32 v29, -1
	s_waitcnt vmcnt(10)
	buffer_store_dword v134, off, s[0:3], 0 offset:88
	s_waitcnt vmcnt(10)
	buffer_store_dword v135, off, s[0:3], 0 offset:92
	s_waitcnt vmcnt(10)
	buffer_store_dword v22, off, s[0:3], 0
	s_waitcnt vmcnt(10)
	buffer_store_dword v23, off, s[0:3], 0 offset:4
	s_waitcnt vmcnt(10)
	buffer_store_dword v24, off, s[0:3], 0 offset:8
	;; [unrolled: 2-line block ×8, first 2 shown]
	v_cmp_eq_u32_e32 vcc, 1, v134
	v_cndmask_b32_e32 v22, v99, v97, vcc
	v_cmp_eq_u32_e64 s[6:7], 2, v134
	v_cndmask_b32_e64 v22, v22, v95, s[6:7]
	v_cndmask_b32_e32 v23, v98, v96, vcc
	v_cmp_eq_u32_e32 vcc, 3, v134
	v_cndmask_b32_e32 v22, v22, v101, vcc
	v_cndmask_b32_e64 v23, v23, v94, s[6:7]
	v_cmp_eq_u32_e64 s[6:7], 4, v134
	v_cndmask_b32_e64 v22, v22, v103, s[6:7]
	v_cndmask_b32_e32 v23, v23, v100, vcc
	v_cmp_eq_u32_e32 vcc, 5, v134
	v_cndmask_b32_e32 v22, v22, v129, vcc
	v_cndmask_b32_e64 v23, v23, v102, s[6:7]
	;; [unrolled: 6-line block ×3, first 2 shown]
	v_cmp_eq_u32_e64 s[6:7], 8, v134
	v_cndmask_b32_e64 v23, v22, v126, s[6:7]
	v_cndmask_b32_e32 v22, v24, v131, vcc
	v_cmp_lt_i32_e64 s[4:5], -1, v134
	v_cndmask_b32_e64 v22, v22, v130, s[6:7]
	v_mov_b32_e32 v27, -1
	s_and_saveexec_b64 s[14:15], s[4:5]
	s_cbranch_execz .LBB4_77
; %bb.74:
	v_mov_b32_e32 v25, v23
	v_mov_b32_e32 v26, -1
	s_mov_b64 s[16:17], 0
	v_mov_b32_e32 v30, 0
	v_mov_b32_e32 v31, v134
	v_mov_b32_e32 v28, -1
	v_mov_b32_e32 v29, -1
	;; [unrolled: 1-line block ×3, first 2 shown]
	v_mov_b32_e32 v24, v22
                                        ; implicit-def: $sgpr18_sgpr19
.LBB4_75:                               ; =>This Inner Loop Header: Depth=1
	v_lshl_add_u32 v32, v31, 2, v30
	buffer_load_dword v32, v32, s[0:3], 0 offen offset:40
	v_cmp_le_f64_e32 vcc, 0, v[24:25]
	v_cmp_gt_f64_e64 s[6:7], 0, v[24:25]
	s_waitcnt vmcnt(0)
	v_cmp_gt_i32_e64 s[8:9], 0, v32
	v_cndmask_b32_e64 v33, v32, v134, s[8:9]
	v_cmp_eq_u32_e64 s[10:11], 1, v33
	v_cndmask_b32_e64 v24, v99, v97, s[10:11]
	v_cmp_eq_u32_e64 s[12:13], 2, v33
	v_cndmask_b32_e64 v24, v24, v95, s[12:13]
	v_cndmask_b32_e64 v25, v98, v96, s[10:11]
	v_cmp_eq_u32_e64 s[10:11], 3, v33
	v_cndmask_b32_e64 v24, v24, v101, s[10:11]
	;; [unrolled: 3-line block ×7, first 2 shown]
	v_cndmask_b32_e64 v24, v34, v131, s[10:11]
	v_cndmask_b32_e64 v24, v24, v130, s[12:13]
	v_cmp_gt_f64_e64 s[10:11], 0, v[24:25]
	v_cmp_le_f64_e64 s[12:13], 0, v[24:25]
	s_and_b64 vcc, vcc, s[10:11]
	s_and_b64 s[10:11], s[6:7], s[12:13]
	s_or_b64 s[16:17], s[8:9], s[16:17]
	s_andn2_b64 s[8:9], s[18:19], exec
	s_and_b64 s[6:7], s[6:7], exec
	v_cndmask_b32_e32 v29, v29, v33, vcc
	v_cndmask_b32_e64 v27, v27, v33, s[10:11]
	v_cndmask_b32_e32 v26, v26, v31, vcc
	v_cndmask_b32_e64 v28, v28, v31, s[10:11]
	v_mov_b32_e32 v31, v32
	s_or_b64 s[18:19], s[8:9], s[6:7]
	s_andn2_b64 exec, exec, s[16:17]
	s_cbranch_execnz .LBB4_75
; %bb.76:
	s_or_b64 exec, exec, s[16:17]
	s_and_b64 s[96:97], s[18:19], exec
.LBB4_77:
	s_or_b64 exec, exec, s[14:15]
	v_mov_b32_e32 v24, -1
	v_cmp_lt_i32_e64 s[6:7], -1, v26
	v_mov_b32_e32 v30, -1
	v_mov_b32_e32 v25, -1
	s_and_saveexec_b64 s[98:99], s[6:7]
	s_cbranch_execz .LBB4_79
; %bb.78:
	v_cmp_eq_u32_e64 s[8:9], 1, v29
	v_cndmask_b32_e64 v25, v99, v97, s[8:9]
	v_cmp_eq_u32_e64 s[10:11], 2, v29
	v_cndmask_b32_e64 v25, v25, v95, s[10:11]
	;; [unrolled: 2-line block ×8, first 2 shown]
	v_cndmask_b32_e64 v25, v98, v96, s[8:9]
	v_cndmask_b32_e64 v25, v25, v94, s[10:11]
	;; [unrolled: 1-line block ×7, first 2 shown]
	v_cmp_eq_u32_e64 s[38:39], 1, v26
	v_cndmask_b32_e64 v29, v25, v130, s[22:23]
	v_cndmask_b32_e64 v25, v99, v97, s[38:39]
	v_cmp_eq_u32_e64 s[40:41], 2, v26
	v_cndmask_b32_e64 v25, v25, v95, s[40:41]
	v_cmp_eq_u32_e64 s[24:25], 3, v26
	;; [unrolled: 2-line block ×7, first 2 shown]
	v_cndmask_b32_e64 v34, v25, v126, s[36:37]
	v_cndmask_b32_e64 v25, v98, v96, s[38:39]
	;; [unrolled: 1-line block ×9, first 2 shown]
	v_add_f64 v[31:32], -v[29:30], 0
	v_add_f64 v[35:36], v[33:34], -v[29:30]
	v_cndmask_b32_e64 v48, v83, v79, s[38:39]
	v_cndmask_b32_e64 v46, v1, v3, s[38:39]
	;; [unrolled: 1-line block ×3, first 2 shown]
	v_cmp_eq_u32_e64 s[80:81], 1, v135
	v_cmp_eq_u32_e64 s[82:83], 0, v135
	;; [unrolled: 1-line block ×4, first 2 shown]
	v_div_scale_f64 v[37:38], s[42:43], v[35:36], v[35:36], v[31:32]
	v_cmp_eq_u32_e64 s[42:43], 1, v28
	v_cmp_eq_u32_e64 s[44:45], 2, v28
	;; [unrolled: 1-line block ×14, first 2 shown]
	v_rcp_f64_e32 v[39:40], v[37:38]
	v_cmp_eq_u32_e64 s[58:59], 2, v27
	v_cmp_eq_u32_e64 s[60:61], 3, v27
	;; [unrolled: 1-line block ×7, first 2 shown]
	v_mov_b32_e32 v45, 0
	v_lshl_add_u32 v25, v135, 2, v45
	v_cndmask_b32_e64 v104, v83, v79, s[8:9]
	buffer_load_dword v25, v25, s[0:3], 0 offen offset:40
	v_cndmask_b32_e64 v49, v82, v78, s[38:39]
	v_fma_f64 v[41:42], -v[37:38], v[39:40], 1.0
	v_fma_f64 v[39:40], v[39:40], v[41:42], v[39:40]
	v_div_scale_f64 v[41:42], vcc, v[31:32], v[35:36], v[31:32]
	v_fma_f64 v[43:44], -v[37:38], v[39:40], 1.0
	v_fma_f64 v[39:40], v[39:40], v[43:44], v[39:40]
	v_mul_f64 v[43:44], v[41:42], v[39:40]
	v_fma_f64 v[37:38], -v[37:38], v[43:44], v[41:42]
	v_cndmask_b32_e64 v41, v1, v3, s[8:9]
	v_cndmask_b32_e64 v42, v0, v2, s[8:9]
	;; [unrolled: 1-line block ×7, first 2 shown]
	v_div_fmas_f64 v[37:38], v[37:38], v[39:40], v[43:44]
	v_cndmask_b32_e64 v43, v48, v81, s[40:41]
	v_cndmask_b32_e64 v43, v43, v91, s[24:25]
	;; [unrolled: 1-line block ×15, first 2 shown]
	v_div_fixup_f64 v[31:32], v[37:38], v[35:36], v[31:32]
	v_cndmask_b32_e64 v35, v42, v8, s[14:15]
	v_cndmask_b32_e64 v38, v41, v11, s[16:17]
	;; [unrolled: 1-line block ×7, first 2 shown]
	v_add_f64 v[35:36], -v[31:32], 1.0
	v_cndmask_b32_e64 v37, v37, v15, s[20:21]
	v_cndmask_b32_e64 v41, v38, v14, s[20:21]
	;; [unrolled: 1-line block ×7, first 2 shown]
	v_mul_f64 v[29:30], v[29:30], v[35:36]
	v_mul_f64 v[37:38], v[37:38], v[35:36]
	v_cndmask_b32_e64 v42, v44, v93, s[14:15]
	v_fma_f64 v[29:30], v[33:34], v[31:32], v[29:30]
	v_fma_f64 v[37:38], v[39:40], v[31:32], v[37:38]
	v_cndmask_b32_e64 v39, v42, v110, s[16:17]
	v_cndmask_b32_e64 v39, v39, v113, s[18:19]
	;; [unrolled: 1-line block ×60, first 2 shown]
	v_add_f64 v[12:13], -v[28:29], 0
	v_add_f64 v[14:15], v[33:34], -v[28:29]
	v_cndmask_b32_e64 v0, v39, v112, s[20:21]
	v_cndmask_b32_e64 v136, v17, v38, s[84:85]
	;; [unrolled: 1-line block ×7, first 2 shown]
	v_div_scale_f64 v[41:42], vcc, v[14:15], v[14:15], v[12:13]
	v_cndmask_b32_e64 v0, v0, v117, s[16:17]
	v_cndmask_b32_e64 v0, v0, v116, s[18:19]
	;; [unrolled: 1-line block ×5, first 2 shown]
	v_mul_f64 v[16:17], v[16:17], v[35:36]
	v_cndmask_b32_e64 v0, v49, v80, s[40:41]
	v_cndmask_b32_e64 v0, v0, v90, s[24:25]
	;; [unrolled: 1-line block ×8, first 2 shown]
	v_fma_f64 v[16:17], v[39:40], v[31:32], v[16:17]
	v_cndmask_b32_e64 v39, v9, v38, s[74:75]
	v_rcp_f64_e32 v[8:9], v[41:42]
	v_cndmask_b32_e64 v140, v1, v38, s[82:83]
	v_cndmask_b32_e64 v139, v3, v38, s[80:81]
	;; [unrolled: 1-line block ×15, first 2 shown]
	v_fma_f64 v[0:1], -v[41:42], v[8:9], 1.0
	v_cndmask_b32_e64 v3, v89, v87, s[8:9]
	v_cndmask_b32_e64 v40, v7, v38, s[76:77]
	;; [unrolled: 1-line block ×4, first 2 shown]
	v_div_scale_f64 v[5:6], vcc, v[12:13], v[14:15], v[12:13]
	v_cndmask_b32_e64 v47, v10, v37, s[90:91]
	v_fma_f64 v[0:1], v[8:9], v[0:1], v[8:9]
	v_cndmask_b32_e64 v7, v7, v19, s[12:13]
	v_cndmask_b32_e64 v7, v7, v21, s[14:15]
	v_cndmask_b32_e64 v7, v7, v120, s[16:17]
	v_cndmask_b32_e64 v7, v7, v123, s[18:19]
	v_cndmask_b32_e64 v7, v7, v119, s[20:21]
	v_cndmask_b32_e64 v8, v7, v118, s[22:23]
	s_waitcnt vmcnt(0)
	v_lshl_add_u32 v7, v25, 2, v45
	v_fma_f64 v[3:4], -v[41:42], v[0:1], 1.0
	buffer_load_dword v45, v7, s[0:3], 0 offen offset:40
	v_cndmask_b32_e64 v106, v2, v37, s[80:81]
	v_cndmask_b32_e64 v2, v89, v87, s[38:39]
	;; [unrolled: 1-line block ×6, first 2 shown]
	v_fma_f64 v[3:4], v[0:1], v[3:4], v[0:1]
	v_cndmask_b32_e64 v0, v88, v86, s[8:9]
	v_cndmask_b32_e64 v0, v0, v84, s[10:11]
	;; [unrolled: 1-line block ×7, first 2 shown]
	v_mul_f64 v[9:10], v[5:6], v[3:4]
	v_cndmask_b32_e64 v7, v0, v121, s[22:23]
	v_mul_f64 v[7:8], v[35:36], v[7:8]
	v_cndmask_b32_e64 v0, v16, v18, s[24:25]
	v_cndmask_b32_e64 v0, v0, v20, s[26:27]
	;; [unrolled: 1-line block ×5, first 2 shown]
	v_fma_f64 v[5:6], -v[41:42], v[9:10], v[5:6]
	v_cndmask_b32_e64 v2, v2, v119, s[34:35]
	v_cndmask_b32_e64 v0, v0, v122, s[34:35]
	;; [unrolled: 1-line block ×4, first 2 shown]
	v_fma_f64 v[0:1], v[31:32], v[1:2], v[7:8]
	v_cndmask_b32_e64 v11, v11, v38, s[90:91]
	v_cndmask_b32_e64 v79, v79, v17, s[80:81]
	v_div_fmas_f64 v[2:3], v[5:6], v[3:4], v[9:10]
	v_cndmask_b32_e64 v83, v83, v17, s[82:83]
	v_cndmask_b32_e64 v42, v81, v17, s[78:79]
	;; [unrolled: 1-line block ×15, first 2 shown]
	v_div_fixup_f64 v[30:31], v[2:3], v[14:15], v[12:13]
	v_cndmask_b32_e64 v2, v140, v139, s[42:43]
	v_cndmask_b32_e64 v2, v2, v49, s[44:45]
	;; [unrolled: 1-line block ×9, first 2 shown]
	v_add_f64 v[35:36], -v[30:31], 1.0
	v_cndmask_b32_e64 v2, v2, v105, s[44:45]
	v_cndmask_b32_e64 v2, v2, v104, s[46:47]
	;; [unrolled: 1-line block ×14, first 2 shown]
	v_mul_f64 v[4:5], v[4:5], v[35:36]
	v_cndmask_b32_e64 v0, v0, v105, s[58:59]
	v_cndmask_b32_e64 v0, v0, v104, s[60:61]
	v_cndmask_b32_e64 v0, v0, v48, s[62:63]
	v_cndmask_b32_e64 v0, v0, v47, s[64:65]
	v_cndmask_b32_e64 v0, v0, v46, s[66:67]
	v_cndmask_b32_e64 v0, v0, v44, s[68:69]
	v_cndmask_b32_e64 v2, v0, v43, s[70:71]
	v_fma_f64 v[37:38], v[2:3], v[30:31], v[4:5]
	v_cndmask_b32_e64 v2, v83, v79, s[42:43]
	v_cndmask_b32_e64 v2, v2, v42, s[44:45]
	;; [unrolled: 1-line block ×38, first 2 shown]
	v_mul_f64 v[2:3], v[2:3], v[35:36]
	v_cndmask_b32_e64 v0, v0, v80, s[58:59]
	v_cndmask_b32_e64 v0, v0, v90, s[60:61]
	;; [unrolled: 1-line block ×7, first 2 shown]
	v_fma_f64 v[18:19], v[0:1], v[30:31], v[2:3]
	v_cmp_eq_u32_e64 s[14:15], 4, v25
	v_cmp_eq_u32_e32 vcc, 8, v25
	v_cmp_eq_u32_e64 s[8:9], 7, v25
	v_cmp_eq_u32_e64 s[10:11], 6, v25
	;; [unrolled: 1-line block ×5, first 2 shown]
	v_cndmask_b32_e64 v93, v32, v19, s[14:15]
	v_cndmask_b32_e64 v32, v89, v87, s[42:43]
	;; [unrolled: 1-line block ×7, first 2 shown]
	v_cmp_eq_u32_e64 s[20:21], 1, v25
	v_cmp_eq_u32_e64 s[22:23], 0, v25
	v_cndmask_b32_e64 v32, v32, v119, s[54:55]
	v_cndmask_b32_e32 v17, v136, v38, vcc
	v_cndmask_b32_e64 v15, v137, v38, s[8:9]
	v_cndmask_b32_e64 v13, v138, v38, s[10:11]
	;; [unrolled: 1-line block ×22, first 2 shown]
	v_cndmask_b32_e32 v16, v43, v37, vcc
	v_cndmask_b32_e64 v14, v44, v37, s[8:9]
	v_cndmask_b32_e64 v12, v46, v37, s[10:11]
	;; [unrolled: 1-line block ×12, first 2 shown]
	v_mul_f64 v[37:38], v[35:36], v[37:38]
	v_mul_f64 v[28:29], v[28:29], v[35:36]
	v_cndmask_b32_e64 v20, v20, v84, s[58:59]
	v_cndmask_b32_e64 v20, v20, v142, s[60:61]
	;; [unrolled: 1-line block ×7, first 2 shown]
	v_fma_f64 v[37:38], v[30:31], v[20:21], v[37:38]
	v_fma_f64 v[28:29], v[33:34], v[30:31], v[28:29]
	v_cndmask_b32_e32 v111, v111, v19, vcc
	v_cndmask_b32_e32 v115, v115, v18, vcc
	v_cndmask_b32_e64 v112, v112, v19, s[8:9]
	v_cndmask_b32_e64 v114, v114, v18, s[8:9]
	;; [unrolled: 1-line block ×15, first 2 shown]
	v_cndmask_b32_e32 v118, v118, v38, vcc
	v_cndmask_b32_e32 v121, v121, v37, vcc
	v_cndmask_b32_e64 v119, v119, v38, s[8:9]
	v_cndmask_b32_e64 v122, v122, v37, s[8:9]
	;; [unrolled: 1-line block ×16, first 2 shown]
	v_cndmask_b32_e32 v126, v126, v29, vcc
	v_cndmask_b32_e32 v130, v130, v28, vcc
	v_cndmask_b32_e64 v127, v127, v29, s[8:9]
	v_cndmask_b32_e64 v131, v131, v28, s[8:9]
	;; [unrolled: 1-line block ×16, first 2 shown]
	v_mov_b32_e32 v30, v135
	s_waitcnt vmcnt(0)
	buffer_store_dword v45, off, s[0:3], 0 offset:84
.LBB4_79:
	s_or_b64 exec, exec, s[98:99]
	buffer_store_dword v24, off, s[0:3], 0 offset:80
	s_and_saveexec_b64 s[22:23], s[4:5]
	s_cbranch_execz .LBB4_88
; %bb.80:
	s_mov_b64 s[24:25], 0
	v_mov_b32_e32 v24, 0
	v_mov_b32_e32 v28, v134
	s_branch .LBB4_82
.LBB4_81:                               ;   in Loop: Header=BB4_82 Depth=1
	s_or_b64 exec, exec, s[10:11]
	s_waitcnt vmcnt(0)
	v_cmp_gt_i32_e32 vcc, 0, v29
	s_or_b64 s[24:25], vcc, s[24:25]
	v_mov_b32_e32 v28, v29
	s_andn2_b64 exec, exec, s[24:25]
	s_cbranch_execz .LBB4_88
.LBB4_82:                               ; =>This Inner Loop Header: Depth=1
	v_lshl_add_u32 v31, v28, 2, v24
	buffer_load_dword v29, v31, s[0:3], 0 offen offset:40
	v_cmp_eq_u32_e32 vcc, 1, v28
	v_cndmask_b32_e32 v32, v99, v97, vcc
	v_cmp_eq_u32_e64 s[8:9], 2, v28
	v_cndmask_b32_e64 v32, v32, v95, s[8:9]
	v_cmp_eq_u32_e64 s[10:11], 3, v28
	v_cndmask_b32_e64 v32, v32, v101, s[10:11]
	v_cmp_eq_u32_e64 s[12:13], 4, v28
	v_cndmask_b32_e64 v32, v32, v103, s[12:13]
	v_cmp_eq_u32_e64 s[14:15], 5, v28
	v_cndmask_b32_e64 v32, v32, v129, s[14:15]
	v_cmp_eq_u32_e64 s[16:17], 6, v28
	v_cndmask_b32_e64 v32, v32, v128, s[16:17]
	v_cmp_eq_u32_e64 s[18:19], 7, v28
	v_cndmask_b32_e64 v32, v32, v127, s[18:19]
	v_cmp_eq_u32_e64 s[20:21], 8, v28
	v_cndmask_b32_e64 v33, v32, v126, s[20:21]
	v_cndmask_b32_e32 v32, v98, v96, vcc
	v_cndmask_b32_e64 v32, v32, v94, s[8:9]
	v_cndmask_b32_e64 v32, v32, v100, s[10:11]
	;; [unrolled: 1-line block ×7, first 2 shown]
	v_cmp_ngt_f64_e32 vcc, 0, v[32:33]
	s_mov_b64 s[8:9], 0
	s_and_saveexec_b64 s[10:11], vcc
	s_xor_b64 s[10:11], exec, s[10:11]
	s_cbranch_execnz .LBB4_85
; %bb.83:                               ;   in Loop: Header=BB4_82 Depth=1
	s_or_saveexec_b64 s[10:11], s[10:11]
	v_mov_b32_e32 v32, 0x50
	s_xor_b64 exec, exec, s[10:11]
	s_cbranch_execnz .LBB4_86
.LBB4_84:                               ;   in Loop: Header=BB4_82 Depth=1
	s_or_b64 exec, exec, s[10:11]
	s_and_saveexec_b64 s[10:11], s[8:9]
	s_cbranch_execz .LBB4_81
	s_branch .LBB4_87
.LBB4_85:                               ;   in Loop: Header=BB4_82 Depth=1
	buffer_load_dword v31, off, s[0:3], 0 offset:80
	s_waitcnt vmcnt(0)
	v_cmp_eq_u32_e32 vcc, -1, v31
	s_and_b64 s[8:9], vcc, exec
                                        ; implicit-def: $vgpr31
	s_or_saveexec_b64 s[10:11], s[10:11]
	v_mov_b32_e32 v32, 0x50
	s_xor_b64 exec, exec, s[10:11]
	s_cbranch_execz .LBB4_84
.LBB4_86:                               ;   in Loop: Header=BB4_82 Depth=1
	buffer_load_dword v33, off, s[0:3], 0 offset:84
	v_mov_b32_e32 v32, 0x54
	s_or_b64 s[8:9], s[8:9], exec
	s_waitcnt vmcnt(0)
	buffer_store_dword v33, v31, s[0:3], 0 offen offset:40
	s_or_b64 exec, exec, s[10:11]
	s_and_saveexec_b64 s[10:11], s[8:9]
	s_cbranch_execz .LBB4_81
.LBB4_87:                               ;   in Loop: Header=BB4_82 Depth=1
	buffer_store_dword v28, v32, s[0:3], 0 offen
	s_branch .LBB4_81
.LBB4_88:
	s_or_b64 exec, exec, s[22:23]
	s_and_saveexec_b64 s[8:9], s[6:7]
	s_cbranch_execz .LBB4_90
; %bb.89:
	v_cmp_gt_f64_e32 vcc, 0, v[22:23]
	v_mov_b32_e32 v22, 0
	v_lshl_add_u32 v23, v26, 2, v22
	v_lshl_add_u32 v24, v30, 2, v22
	;; [unrolled: 1-line block ×3, first 2 shown]
	buffer_store_dword v30, v23, s[0:3], 0 offen offset:40
	s_and_b64 s[6:7], s[4:5], vcc
	s_or_b64 s[6:7], s[96:97], s[6:7]
	v_cndmask_b32_e64 v23, v27, -1, s[6:7]
	buffer_store_dword v25, v24, s[0:3], 0 offen offset:40
	buffer_store_dword v23, v22, s[0:3], 0 offen offset:40
.LBB4_90:
	s_or_b64 exec, exec, s[8:9]
	buffer_load_dword v32, off, s[0:3], 0 offset:80
	v_mov_b32_e32 v30, 0
	v_mov_b32_e32 v26, 0
	;; [unrolled: 1-line block ×10, first 2 shown]
	s_waitcnt vmcnt(0)
	v_cmp_lt_i32_e32 vcc, -1, v32
	s_and_saveexec_b64 s[20:21], vcc
	s_cbranch_execz .LBB4_96
; %bb.91:
	v_mov_b32_e32 v136, 0
	v_lshl_add_u32 v22, v32, 2, v136
	buffer_load_dword v38, v22, s[0:3], 0 offen offset:40
	v_mov_b32_e32 v24, 0
	v_mov_b32_e32 v28, 0
	;; [unrolled: 1-line block ×6, first 2 shown]
	s_waitcnt vmcnt(0)
	v_lshl_add_u32 v22, v38, 2, v136
	buffer_load_dword v137, v22, s[0:3], 0 offen offset:40
	v_mov_b32_e32 v22, 0
	v_mov_b32_e32 v23, 0
	s_waitcnt vmcnt(0)
	v_cmp_lt_i32_e32 vcc, -1, v137
	s_and_saveexec_b64 s[22:23], vcc
	s_cbranch_execz .LBB4_95
; %bb.92:
	v_cmp_eq_u32_e32 vcc, 1, v32
	v_cndmask_b32_e32 v22, v1, v3, vcc
	v_cmp_eq_u32_e64 s[6:7], 2, v32
	v_cndmask_b32_e64 v22, v22, v5, s[6:7]
	v_cmp_eq_u32_e64 s[8:9], 3, v32
	v_cndmask_b32_e64 v22, v22, v7, s[8:9]
	;; [unrolled: 2-line block ×7, first 2 shown]
	v_cndmask_b32_e32 v22, v0, v2, vcc
	v_cndmask_b32_e64 v22, v22, v4, s[6:7]
	v_cndmask_b32_e64 v22, v22, v6, s[8:9]
	v_cndmask_b32_e64 v22, v22, v8, s[10:11]
	v_cndmask_b32_e64 v22, v22, v10, s[12:13]
	v_cndmask_b32_e64 v22, v22, v12, s[14:15]
	v_cndmask_b32_e64 v22, v22, v14, s[16:17]
	v_cndmask_b32_e64 v32, v22, v16, s[18:19]
	v_cndmask_b32_e32 v22, v83, v79, vcc
	v_cndmask_b32_e64 v22, v22, v81, s[6:7]
	v_cndmask_b32_e64 v22, v22, v91, s[8:9]
	v_cndmask_b32_e64 v22, v22, v93, s[10:11]
	v_cndmask_b32_e64 v22, v22, v110, s[12:13]
	v_cndmask_b32_e64 v22, v22, v113, s[14:15]
	v_cndmask_b32_e64 v22, v22, v112, s[16:17]
	v_cndmask_b32_e64 v35, v22, v111, s[18:19]
	;; [unrolled: 8-line block ×4, first 2 shown]
	v_cndmask_b32_e32 v22, v88, v86, vcc
	v_cndmask_b32_e64 v22, v22, v84, s[6:7]
	v_cndmask_b32_e64 v22, v22, v18, s[8:9]
	;; [unrolled: 1-line block ×6, first 2 shown]
	v_cmp_eq_u32_e32 vcc, 1, v38
	v_cndmask_b32_e64 v36, v22, v121, s[18:19]
	v_cndmask_b32_e32 v22, v83, v79, vcc
	v_cmp_eq_u32_e64 s[6:7], 2, v38
	v_cndmask_b32_e64 v22, v22, v81, s[6:7]
	v_cmp_eq_u32_e64 s[8:9], 3, v38
	v_cndmask_b32_e64 v22, v22, v91, s[8:9]
	;; [unrolled: 2-line block ×7, first 2 shown]
	v_cndmask_b32_e32 v22, v82, v78, vcc
	v_cndmask_b32_e64 v22, v22, v80, s[6:7]
	v_cndmask_b32_e64 v22, v22, v90, s[8:9]
	v_cndmask_b32_e64 v22, v22, v92, s[10:11]
	v_cndmask_b32_e64 v22, v22, v117, s[12:13]
	v_cndmask_b32_e64 v22, v22, v116, s[14:15]
	v_cndmask_b32_e64 v22, v22, v114, s[16:17]
	v_cndmask_b32_e64 v38, v22, v115, s[18:19]
	v_cndmask_b32_e32 v22, v1, v3, vcc
	v_cndmask_b32_e64 v22, v22, v5, s[6:7]
	v_cndmask_b32_e64 v22, v22, v7, s[8:9]
	v_cndmask_b32_e64 v22, v22, v9, s[10:11]
	v_cndmask_b32_e64 v22, v22, v11, s[12:13]
	v_cndmask_b32_e64 v22, v22, v13, s[14:15]
	v_cndmask_b32_e64 v22, v22, v15, s[16:17]
	v_cndmask_b32_e64 v41, v22, v17, s[18:19]
	;; [unrolled: 8-line block ×4, first 2 shown]
	v_cndmask_b32_e32 v22, v88, v86, vcc
	v_add_f64 v[42:43], v[38:39], -v[34:35]
	v_add_f64 v[106:107], v[40:41], -v[32:33]
	v_cndmask_b32_e64 v22, v22, v84, s[6:7]
	v_mul_f64 v[44:45], v[32:33], v[36:37]
	v_mul_f64 v[46:47], v[34:35], v[36:37]
	;; [unrolled: 1-line block ×3, first 2 shown]
	v_cndmask_b32_e64 v22, v22, v18, s[8:9]
	v_cndmask_b32_e64 v22, v22, v20, s[10:11]
	;; [unrolled: 1-line block ×6, first 2 shown]
	v_mov_b32_e32 v26, 0
	v_mov_b32_e32 v28, 0
	;; [unrolled: 1-line block ×8, first 2 shown]
	s_mov_b64 s[18:19], 0
.LBB4_93:                               ; =>This Inner Loop Header: Depth=1
	v_cmp_eq_u32_e32 vcc, 1, v137
	v_lshl_add_u32 v147, v137, 2, v136
	v_cndmask_b32_e32 v146, v1, v3, vcc
	v_cmp_eq_u32_e64 s[6:7], 2, v137
	v_cndmask_b32_e32 v148, v0, v2, vcc
	v_cndmask_b32_e32 v149, v83, v79, vcc
	;; [unrolled: 1-line block ×5, first 2 shown]
	v_cmp_eq_u32_e32 vcc, 3, v137
	v_cmp_eq_u32_e64 s[8:9], 4, v137
	v_cmp_eq_u32_e64 s[10:11], 5, v137
	;; [unrolled: 1-line block ×5, first 2 shown]
	buffer_load_dword v137, v147, s[0:3], 0 offen offset:40
	v_cndmask_b32_e64 v146, v146, v5, s[6:7]
	v_cndmask_b32_e32 v146, v146, v7, vcc
	v_cndmask_b32_e64 v148, v148, v4, s[6:7]
	v_cndmask_b32_e64 v146, v146, v9, s[8:9]
	;; [unrolled: 1-line block ×3, first 2 shown]
	v_cndmask_b32_e32 v148, v148, v6, vcc
	v_cndmask_b32_e64 v146, v146, v11, s[10:11]
	v_cndmask_b32_e32 v147, v147, v90, vcc
	v_cndmask_b32_e64 v148, v148, v8, s[8:9]
	v_cndmask_b32_e64 v149, v149, v81, s[6:7]
	;; [unrolled: 1-line block ×6, first 2 shown]
	v_cndmask_b32_e32 v149, v149, v91, vcc
	v_cndmask_b32_e64 v147, v147, v117, s[10:11]
	v_cndmask_b32_e64 v148, v148, v12, s[12:13]
	;; [unrolled: 1-line block ×11, first 2 shown]
	v_add_f64 v[148:149], v[146:147], -v[32:33]
	v_cndmask_b32_e32 v150, v150, v19, vcc
	v_cndmask_b32_e32 v151, v151, v18, vcc
	v_cndmask_b32_e64 v150, v150, v21, s[8:9]
	v_cndmask_b32_e64 v151, v151, v20, s[8:9]
	v_cndmask_b32_e64 v150, v150, v120, s[10:11]
	v_cndmask_b32_e64 v151, v151, v125, s[10:11]
	v_cndmask_b32_e64 v154, v150, v123, s[12:13]
	v_cndmask_b32_e64 v150, v152, v112, s[14:15]
	v_cndmask_b32_e64 v152, v153, v114, s[14:15]
	v_cndmask_b32_e64 v155, v151, v124, s[12:13]
	v_cndmask_b32_e64 v151, v150, v111, s[16:17]
	v_cndmask_b32_e64 v150, v152, v115, s[16:17]
	v_add_f64 v[138:139], v[36:37], v[104:105]
	v_fma_f64 v[144:145], v[104:105], v[104:105], v[48:49]
	v_add_f64 v[152:153], v[150:151], -v[34:35]
	v_mul_f64 v[42:43], v[148:149], v[42:43]
	v_cndmask_b32_e64 v154, v154, v119, s[14:15]
	v_cndmask_b32_e64 v156, v155, v122, s[14:15]
	;; [unrolled: 1-line block ×4, first 2 shown]
	v_add_f64 v[140:141], v[32:33], v[40:41]
	v_add_f64 v[142:143], v[34:35], v[38:39]
	;; [unrolled: 1-line block ×3, first 2 shown]
	v_fma_f64 v[144:145], v[154:155], v[154:155], v[144:145]
	v_fma_f64 v[42:43], v[152:153], v[106:107], -v[42:43]
	v_fma_f64 v[40:41], v[40:41], v[104:105], v[44:45]
	v_fma_f64 v[38:39], v[38:39], v[104:105], v[46:47]
	v_add_f64 v[106:107], v[146:147], v[140:141]
	v_add_f64 v[140:141], v[150:151], v[142:143]
	v_fma_f64 v[142:143], v[36:37], v[104:105], v[144:145]
	v_mul_f64 v[144:145], v[138:139], v[42:43]
	v_fma_f64 v[40:41], v[146:147], v[154:155], v[40:41]
	v_fma_f64 v[38:39], v[150:151], v[154:155], v[38:39]
	;; [unrolled: 1-line block ×4, first 2 shown]
	v_mul_f64 v[106:107], v[106:107], v[144:145]
	v_mul_f64 v[140:141], v[140:141], v[144:145]
	v_fma_f64 v[104:105], v[104:105], v[154:155], v[142:143]
	v_fma_f64 v[40:41], v[42:43], v[40:41], v[106:107]
	v_fma_f64 v[38:39], v[42:43], v[38:39], v[140:141]
	v_mov_b32_e32 v106, v148
	v_mov_b32_e32 v107, v149
	s_waitcnt vmcnt(0)
	v_cmp_gt_i32_e32 vcc, 0, v137
	s_or_b64 s[18:19], vcc, s[18:19]
	v_fma_f64 v[22:23], v[42:43], v[104:105], v[22:23]
	v_add_f64 v[28:29], v[28:29], v[40:41]
	v_add_f64 v[24:25], v[24:25], v[38:39]
	v_mov_b32_e32 v40, v146
	v_mov_b32_e32 v38, v150
	;; [unrolled: 1-line block ×8, first 2 shown]
	s_andn2_b64 exec, exec, s[18:19]
	s_cbranch_execnz .LBB4_93
; %bb.94:
	s_or_b64 exec, exec, s[18:19]
.LBB4_95:
	s_or_b64 exec, exec, s[22:23]
.LBB4_96:
	s_or_b64 exec, exec, s[20:21]
	s_and_saveexec_b64 s[22:23], s[4:5]
	s_cbranch_execz .LBB4_100
; %bb.97:
	s_mov_b32 s26, 0x4ad4b81f
	s_mov_b64 s[24:25], 0
	s_mov_b32 s27, 0xb58dee7a
	v_mov_b32_e32 v30, 0
	v_mov_b32_e32 v31, v134
.LBB4_98:                               ; =>This Inner Loop Header: Depth=1
	v_lshl_add_u32 v34, v31, 2, v30
	v_cmp_eq_u32_e32 vcc, 1, v31
	v_cmp_eq_u32_e64 s[6:7], 2, v31
	v_cmp_eq_u32_e64 s[8:9], 3, v31
	;; [unrolled: 1-line block ×8, first 2 shown]
	buffer_load_dword v31, v34, s[0:3], 0 offen
	v_cndmask_b32_e32 v32, v99, v97, vcc
	v_cndmask_b32_e64 v32, v32, v95, s[6:7]
	v_cndmask_b32_e32 v33, v98, v96, vcc
	v_cndmask_b32_e64 v32, v32, v101, s[8:9]
	v_cndmask_b32_e64 v33, v33, v94, s[6:7]
	;; [unrolled: 1-line block ×13, first 2 shown]
	v_add_f64 v[32:33], -v[32:33], s[26:27]
	v_cndmask_b32_e32 v97, v97, v33, vcc
	v_cndmask_b32_e32 v96, v96, v32, vcc
	v_cndmask_b32_e64 v126, v126, v33, s[18:19]
	v_cndmask_b32_e64 v130, v130, v32, s[18:19]
	v_cndmask_b32_e64 v127, v127, v33, s[16:17]
	v_cndmask_b32_e64 v131, v131, v32, s[16:17]
	v_cndmask_b32_e64 v128, v128, v33, s[14:15]
	v_cndmask_b32_e64 v132, v132, v32, s[14:15]
	v_cndmask_b32_e64 v129, v129, v33, s[12:13]
	v_cndmask_b32_e64 v133, v133, v32, s[12:13]
	v_cndmask_b32_e64 v103, v103, v33, s[10:11]
	v_cndmask_b32_e64 v102, v102, v32, s[10:11]
	v_cndmask_b32_e64 v101, v101, v33, s[8:9]
	v_cndmask_b32_e64 v100, v100, v32, s[8:9]
	v_cndmask_b32_e64 v95, v95, v33, s[6:7]
	v_cndmask_b32_e64 v94, v94, v32, s[6:7]
	v_cndmask_b32_e64 v99, v99, v33, s[20:21]
	v_cndmask_b32_e64 v98, v98, v32, s[20:21]
	s_waitcnt vmcnt(0)
	v_cmp_gt_i32_e32 vcc, 0, v31
	s_or_b64 s[24:25], vcc, s[24:25]
	s_andn2_b64 exec, exec, s[24:25]
	s_cbranch_execnz .LBB4_98
; %bb.99:
	s_or_b64 exec, exec, s[24:25]
	v_cmp_eq_u32_e32 vcc, 1, v134
	v_cndmask_b32_e32 v30, v99, v97, vcc
	v_cmp_eq_u32_e64 s[6:7], 2, v134
	v_cndmask_b32_e64 v30, v30, v95, s[6:7]
	v_cmp_eq_u32_e64 s[8:9], 3, v134
	v_cndmask_b32_e64 v30, v30, v101, s[8:9]
	;; [unrolled: 2-line block ×7, first 2 shown]
	v_cndmask_b32_e32 v30, v98, v96, vcc
	v_cndmask_b32_e64 v30, v30, v94, s[6:7]
	v_cndmask_b32_e64 v30, v30, v100, s[8:9]
	;; [unrolled: 1-line block ×7, first 2 shown]
.LBB4_100:
	s_or_b64 exec, exec, s[22:23]
	v_mov_b32_e32 v33, v31
	v_mov_b32_e32 v36, -1
	v_mov_b32_e32 v38, -1
	;; [unrolled: 1-line block ×3, first 2 shown]
	v_mov_b32_e32 v32, v30
	v_mov_b32_e32 v37, -1
	s_and_saveexec_b64 s[14:15], s[4:5]
	s_cbranch_execz .LBB4_104
; %bb.101:
	v_mov_b32_e32 v35, v31
	v_mov_b32_e32 v36, -1
	s_mov_b64 s[16:17], 0
	v_mov_b32_e32 v40, 0
	v_mov_b32_e32 v41, v134
	v_mov_b32_e32 v38, -1
	v_mov_b32_e32 v39, -1
	;; [unrolled: 1-line block ×3, first 2 shown]
	v_mov_b32_e32 v34, v30
.LBB4_102:                              ; =>This Inner Loop Header: Depth=1
	v_lshl_add_u32 v32, v41, 2, v40
	buffer_load_dword v42, v32, s[0:3], 0 offen
	v_mov_b32_e32 v32, v34
	v_mov_b32_e32 v33, v35
	v_cmp_le_f64_e32 vcc, 0, v[32:33]
	s_waitcnt vmcnt(0)
	v_cmp_gt_i32_e64 s[6:7], 0, v42
	v_cndmask_b32_e64 v43, v42, v134, s[6:7]
	v_cmp_eq_u32_e64 s[8:9], 1, v43
	v_cndmask_b32_e64 v34, v99, v97, s[8:9]
	v_cmp_eq_u32_e64 s[10:11], 2, v43
	v_cndmask_b32_e64 v34, v34, v95, s[10:11]
	v_cndmask_b32_e64 v35, v98, v96, s[8:9]
	v_cmp_eq_u32_e64 s[8:9], 3, v43
	v_cndmask_b32_e64 v34, v34, v101, s[8:9]
	;; [unrolled: 3-line block ×7, first 2 shown]
	v_cndmask_b32_e64 v34, v44, v131, s[8:9]
	v_cndmask_b32_e64 v34, v34, v130, s[10:11]
	v_cmp_gt_f64_e64 s[8:9], 0, v[34:35]
	v_cmp_gt_f64_e64 s[10:11], 0, v[32:33]
	v_cmp_le_f64_e64 s[12:13], 0, v[34:35]
	s_and_b64 vcc, vcc, s[8:9]
	v_cndmask_b32_e32 v39, v39, v43, vcc
	s_and_b64 s[8:9], s[10:11], s[12:13]
	v_cndmask_b32_e64 v37, v37, v43, s[8:9]
	v_cndmask_b32_e32 v36, v36, v41, vcc
	v_cndmask_b32_e64 v38, v38, v41, s[8:9]
	s_or_b64 s[16:17], s[6:7], s[16:17]
	v_mov_b32_e32 v41, v42
	s_andn2_b64 exec, exec, s[16:17]
	s_cbranch_execnz .LBB4_102
; %bb.103:
	s_or_b64 exec, exec, s[16:17]
.LBB4_104:
	s_or_b64 exec, exec, s[14:15]
	v_mov_b32_e32 v34, -1
	v_cmp_lt_i32_e64 s[6:7], -1, v36
	v_mov_b32_e32 v40, -1
	v_mov_b32_e32 v35, -1
	s_and_saveexec_b64 s[96:97], s[6:7]
	s_cbranch_execz .LBB4_106
; %bb.105:
	v_cmp_eq_u32_e64 s[8:9], 1, v39
	v_cndmask_b32_e64 v35, v99, v97, s[8:9]
	v_cmp_eq_u32_e64 s[10:11], 2, v39
	v_cndmask_b32_e64 v35, v35, v95, s[10:11]
	;; [unrolled: 2-line block ×8, first 2 shown]
	v_cndmask_b32_e64 v35, v98, v96, s[8:9]
	v_cndmask_b32_e64 v35, v35, v94, s[10:11]
	;; [unrolled: 1-line block ×7, first 2 shown]
	v_cmp_eq_u32_e64 s[38:39], 1, v36
	v_cndmask_b32_e64 v39, v35, v130, s[22:23]
	v_cndmask_b32_e64 v35, v99, v97, s[38:39]
	v_cmp_eq_u32_e64 s[40:41], 2, v36
	v_cndmask_b32_e64 v35, v35, v95, s[40:41]
	v_cmp_eq_u32_e64 s[24:25], 3, v36
	;; [unrolled: 2-line block ×7, first 2 shown]
	v_cndmask_b32_e64 v44, v35, v126, s[36:37]
	v_cndmask_b32_e64 v35, v98, v96, s[38:39]
	;; [unrolled: 1-line block ×9, first 2 shown]
	v_add_f64 v[41:42], -v[39:40], 0
	v_add_f64 v[45:46], v[43:44], -v[39:40]
	v_cndmask_b32_e64 v140, v83, v79, s[38:39]
	v_cndmask_b32_e64 v138, v1, v3, s[38:39]
	;; [unrolled: 1-line block ×3, first 2 shown]
	v_cmp_eq_u32_e64 s[80:81], 1, v135
	v_cmp_eq_u32_e64 s[82:83], 0, v135
	;; [unrolled: 1-line block ×4, first 2 shown]
	v_div_scale_f64 v[47:48], s[42:43], v[45:46], v[45:46], v[41:42]
	v_cmp_eq_u32_e64 s[42:43], 1, v38
	v_cmp_eq_u32_e64 s[44:45], 2, v38
	;; [unrolled: 1-line block ×14, first 2 shown]
	v_rcp_f64_e32 v[104:105], v[47:48]
	v_cmp_eq_u32_e64 s[58:59], 2, v37
	v_cmp_eq_u32_e64 s[60:61], 3, v37
	;; [unrolled: 1-line block ×7, first 2 shown]
	v_mov_b32_e32 v49, 0
	v_cndmask_b32_e64 v142, v83, v79, s[8:9]
	v_lshl_add_u32 v35, v135, 2, v49
	buffer_load_dword v35, v35, s[0:3], 0 offen
	v_cndmask_b32_e64 v141, v82, v78, s[38:39]
	v_fma_f64 v[106:107], -v[47:48], v[104:105], 1.0
	v_fma_f64 v[104:105], v[104:105], v[106:107], v[104:105]
	v_div_scale_f64 v[106:107], vcc, v[41:42], v[45:46], v[41:42]
	v_fma_f64 v[136:137], -v[47:48], v[104:105], 1.0
	v_fma_f64 v[104:105], v[104:105], v[136:137], v[104:105]
	v_mul_f64 v[136:137], v[106:107], v[104:105]
	v_fma_f64 v[47:48], -v[47:48], v[136:137], v[106:107]
	v_cndmask_b32_e64 v106, v1, v3, s[8:9]
	v_cndmask_b32_e64 v107, v0, v2, s[8:9]
	;; [unrolled: 1-line block ×7, first 2 shown]
	v_div_fmas_f64 v[47:48], v[47:48], v[104:105], v[136:137]
	v_cndmask_b32_e64 v136, v140, v81, s[40:41]
	v_cndmask_b32_e64 v136, v136, v91, s[24:25]
	v_cndmask_b32_e64 v104, v138, v5, s[40:41]
	v_cndmask_b32_e64 v105, v139, v4, s[40:41]
	v_cndmask_b32_e64 v104, v104, v7, s[24:25]
	v_cndmask_b32_e64 v105, v105, v6, s[24:25]
	v_cndmask_b32_e64 v104, v104, v9, s[26:27]
	v_cndmask_b32_e64 v105, v105, v8, s[26:27]
	v_cndmask_b32_e64 v104, v104, v11, s[28:29]
	v_cndmask_b32_e64 v105, v105, v10, s[28:29]
	v_cndmask_b32_e64 v104, v104, v13, s[30:31]
	v_cndmask_b32_e64 v105, v105, v12, s[30:31]
	v_cndmask_b32_e64 v104, v104, v15, s[34:35]
	v_cndmask_b32_e64 v137, v142, v81, s[10:11]
	v_cndmask_b32_e64 v137, v137, v91, s[12:13]
	v_div_fixup_f64 v[41:42], v[47:48], v[45:46], v[41:42]
	v_cndmask_b32_e64 v45, v107, v8, s[14:15]
	v_cndmask_b32_e64 v48, v106, v11, s[16:17]
	;; [unrolled: 1-line block ×7, first 2 shown]
	v_add_f64 v[45:46], -v[41:42], 1.0
	v_cndmask_b32_e64 v47, v47, v15, s[20:21]
	v_cndmask_b32_e64 v106, v48, v14, s[20:21]
	;; [unrolled: 1-line block ×7, first 2 shown]
	v_mul_f64 v[39:40], v[39:40], v[45:46]
	v_mul_f64 v[47:48], v[47:48], v[45:46]
	v_cndmask_b32_e64 v107, v137, v93, s[14:15]
	v_fma_f64 v[39:40], v[43:44], v[41:42], v[39:40]
	v_fma_f64 v[47:48], v[104:105], v[41:42], v[47:48]
	v_cndmask_b32_e64 v104, v107, v110, s[16:17]
	v_cndmask_b32_e64 v105, v136, v113, s[30:31]
	;; [unrolled: 1-line block ×60, first 2 shown]
	v_add_f64 v[12:13], -v[38:39], 0
	v_add_f64 v[14:15], v[43:44], -v[38:39]
	v_cndmask_b32_e64 v0, v106, v112, s[20:21]
	v_cndmask_b32_e64 v144, v17, v48, s[84:85]
	;; [unrolled: 1-line block ×7, first 2 shown]
	v_div_scale_f64 v[94:95], s[98:99], v[14:15], v[14:15], v[12:13]
	v_cndmask_b32_e64 v0, v0, v117, s[16:17]
	v_cndmask_b32_e64 v0, v0, v116, s[18:19]
	;; [unrolled: 1-line block ×5, first 2 shown]
	v_mul_f64 v[16:17], v[16:17], v[45:46]
	v_cndmask_b32_e64 v0, v141, v80, s[40:41]
	v_cndmask_b32_e64 v0, v0, v90, s[24:25]
	;; [unrolled: 1-line block ×8, first 2 shown]
	v_fma_f64 v[16:17], v[103:104], v[41:42], v[16:17]
	v_cndmask_b32_e64 v103, v9, v48, s[74:75]
	v_rcp_f64_e32 v[8:9], v[94:95]
	v_cndmask_b32_e64 v150, v1, v48, s[82:83]
	v_cndmask_b32_e64 v141, v3, v48, s[80:81]
	;; [unrolled: 1-line block ×15, first 2 shown]
	v_fma_f64 v[0:1], -v[94:95], v[8:9], 1.0
	v_cndmask_b32_e64 v3, v89, v87, s[8:9]
	v_cndmask_b32_e64 v104, v7, v48, s[76:77]
	v_cndmask_b32_e64 v106, v5, v48, s[78:79]
	v_cndmask_b32_e64 v7, v3, v85, s[10:11]
	v_div_scale_f64 v[5:6], vcc, v[12:13], v[14:15], v[12:13]
	v_cndmask_b32_e64 v137, v10, v47, s[90:91]
	v_fma_f64 v[0:1], v[8:9], v[0:1], v[8:9]
	v_cndmask_b32_e64 v7, v7, v19, s[12:13]
	v_cndmask_b32_e64 v7, v7, v21, s[14:15]
	;; [unrolled: 1-line block ×6, first 2 shown]
	s_waitcnt vmcnt(0)
	v_lshl_add_u32 v7, v35, 2, v49
	v_fma_f64 v[3:4], -v[94:95], v[0:1], 1.0
	buffer_load_dword v49, v7, s[0:3], 0 offen
	v_cndmask_b32_e64 v142, v2, v47, s[80:81]
	v_cndmask_b32_e64 v2, v89, v87, s[38:39]
	;; [unrolled: 1-line block ×6, first 2 shown]
	v_fma_f64 v[3:4], v[0:1], v[3:4], v[0:1]
	v_cndmask_b32_e64 v0, v88, v86, s[8:9]
	v_cndmask_b32_e64 v0, v0, v84, s[10:11]
	;; [unrolled: 1-line block ×7, first 2 shown]
	v_mul_f64 v[9:10], v[5:6], v[3:4]
	v_cndmask_b32_e64 v7, v0, v121, s[22:23]
	v_mul_f64 v[7:8], v[45:46], v[7:8]
	v_cndmask_b32_e64 v0, v16, v18, s[24:25]
	v_cndmask_b32_e64 v0, v0, v20, s[26:27]
	;; [unrolled: 1-line block ×5, first 2 shown]
	v_fma_f64 v[5:6], -v[94:95], v[9:10], v[5:6]
	v_cndmask_b32_e64 v2, v2, v119, s[34:35]
	v_cndmask_b32_e64 v0, v0, v122, s[34:35]
	;; [unrolled: 1-line block ×4, first 2 shown]
	v_fma_f64 v[0:1], v[41:42], v[1:2], v[7:8]
	v_cndmask_b32_e64 v11, v11, v48, s[90:91]
	v_cndmask_b32_e64 v79, v79, v17, s[80:81]
	v_div_fmas_f64 v[2:3], v[5:6], v[3:4], v[9:10]
	v_cndmask_b32_e64 v83, v83, v17, s[82:83]
	v_cndmask_b32_e64 v81, v81, v17, s[78:79]
	;; [unrolled: 1-line block ×15, first 2 shown]
	v_div_fixup_f64 v[40:41], v[2:3], v[14:15], v[12:13]
	v_cndmask_b32_e64 v2, v150, v141, s[42:43]
	v_cndmask_b32_e64 v2, v2, v106, s[44:45]
	;; [unrolled: 1-line block ×9, first 2 shown]
	v_add_f64 v[45:46], -v[40:41], 1.0
	v_cndmask_b32_e64 v2, v2, v140, s[44:45]
	v_cndmask_b32_e64 v2, v2, v139, s[46:47]
	;; [unrolled: 1-line block ×14, first 2 shown]
	v_mul_f64 v[4:5], v[4:5], v[45:46]
	v_cndmask_b32_e64 v0, v0, v140, s[58:59]
	v_cndmask_b32_e64 v0, v0, v139, s[60:61]
	;; [unrolled: 1-line block ×7, first 2 shown]
	v_fma_f64 v[47:48], v[2:3], v[40:41], v[4:5]
	v_cndmask_b32_e64 v2, v83, v79, s[42:43]
	v_cndmask_b32_e64 v2, v2, v81, s[44:45]
	;; [unrolled: 1-line block ×38, first 2 shown]
	v_mul_f64 v[2:3], v[2:3], v[45:46]
	v_cndmask_b32_e64 v0, v0, v80, s[58:59]
	v_cndmask_b32_e64 v0, v0, v90, s[60:61]
	;; [unrolled: 1-line block ×7, first 2 shown]
	v_fma_f64 v[18:19], v[0:1], v[40:41], v[2:3]
	v_cmp_eq_u32_e64 s[14:15], 4, v35
	v_cmp_eq_u32_e32 vcc, 8, v35
	v_cmp_eq_u32_e64 s[8:9], 7, v35
	v_cmp_eq_u32_e64 s[10:11], 6, v35
	v_cmp_eq_u32_e64 s[12:13], 5, v35
	v_cmp_eq_u32_e64 s[16:17], 3, v35
	v_cmp_eq_u32_e64 s[18:19], 2, v35
	v_cndmask_b32_e64 v93, v42, v19, s[14:15]
	v_cndmask_b32_e64 v42, v89, v87, s[42:43]
	;; [unrolled: 1-line block ×7, first 2 shown]
	v_cmp_eq_u32_e64 s[20:21], 1, v35
	v_cmp_eq_u32_e64 s[22:23], 0, v35
	v_cndmask_b32_e64 v42, v42, v119, s[54:55]
	v_cndmask_b32_e32 v17, v144, v48, vcc
	v_cndmask_b32_e64 v15, v145, v48, s[8:9]
	v_cndmask_b32_e64 v13, v146, v48, s[10:11]
	;; [unrolled: 1-line block ×22, first 2 shown]
	v_cndmask_b32_e32 v16, v105, v47, vcc
	v_cndmask_b32_e64 v14, v107, v47, s[8:9]
	v_cndmask_b32_e64 v12, v136, v47, s[10:11]
	v_cndmask_b32_e64 v10, v137, v47, s[12:13]
	v_cndmask_b32_e64 v8, v138, v47, s[14:15]
	v_cndmask_b32_e64 v6, v139, v47, s[16:17]
	v_cndmask_b32_e64 v4, v140, v47, s[18:19]
	v_cndmask_b32_e64 v2, v142, v47, s[20:21]
	v_cndmask_b32_e64 v0, v143, v47, s[22:23]
	v_cndmask_b32_e64 v20, v20, v119, s[68:69]
	v_cndmask_b32_e64 v47, v42, v94, s[56:57]
	v_cndmask_b32_e64 v21, v20, v118, s[70:71]
	v_cndmask_b32_e64 v20, v88, v86, s[72:73]
	v_mul_f64 v[47:48], v[45:46], v[47:48]
	v_mul_f64 v[38:39], v[38:39], v[45:46]
	v_cndmask_b32_e64 v20, v20, v84, s[58:59]
	v_cndmask_b32_e64 v20, v20, v152, s[60:61]
	;; [unrolled: 1-line block ×7, first 2 shown]
	v_fma_f64 v[47:48], v[40:41], v[20:21], v[47:48]
	v_fma_f64 v[38:39], v[43:44], v[40:41], v[38:39]
	v_cndmask_b32_e32 v111, v111, v19, vcc
	v_cndmask_b32_e32 v115, v115, v18, vcc
	v_cndmask_b32_e64 v112, v112, v19, s[8:9]
	v_cndmask_b32_e64 v114, v114, v18, s[8:9]
	;; [unrolled: 1-line block ×15, first 2 shown]
	v_cndmask_b32_e32 v118, v118, v48, vcc
	v_cndmask_b32_e32 v121, v94, v47, vcc
	v_cndmask_b32_e64 v119, v119, v48, s[8:9]
	v_cndmask_b32_e64 v122, v95, v47, s[8:9]
	;; [unrolled: 1-line block ×16, first 2 shown]
	v_cndmask_b32_e32 v126, v126, v39, vcc
	v_cndmask_b32_e32 v130, v130, v38, vcc
	v_cndmask_b32_e64 v127, v127, v39, s[8:9]
	v_cndmask_b32_e64 v131, v131, v38, s[8:9]
	;; [unrolled: 1-line block ×16, first 2 shown]
	v_mov_b32_e32 v40, v135
	s_waitcnt vmcnt(0)
	buffer_store_dword v49, off, s[0:3], 0 offset:92
.LBB4_106:
	s_or_b64 exec, exec, s[96:97]
	buffer_store_dword v34, off, s[0:3], 0 offset:88
	s_and_saveexec_b64 s[20:21], s[4:5]
	s_cbranch_execz .LBB4_115
; %bb.107:
	s_mov_b64 s[22:23], 0
	v_mov_b32_e32 v34, 0
	s_branch .LBB4_109
.LBB4_108:                              ;   in Loop: Header=BB4_109 Depth=1
	s_or_b64 exec, exec, s[8:9]
	s_waitcnt vmcnt(0)
	v_cmp_gt_i32_e32 vcc, 0, v38
	s_or_b64 s[22:23], vcc, s[22:23]
	v_mov_b32_e32 v134, v38
	s_andn2_b64 exec, exec, s[22:23]
	s_cbranch_execz .LBB4_115
.LBB4_109:                              ; =>This Inner Loop Header: Depth=1
	v_lshl_add_u32 v39, v134, 2, v34
	buffer_load_dword v38, v39, s[0:3], 0 offen
	v_cmp_eq_u32_e32 vcc, 1, v134
	v_cndmask_b32_e32 v41, v99, v97, vcc
	v_cmp_eq_u32_e64 s[4:5], 2, v134
	v_cndmask_b32_e64 v41, v41, v95, s[4:5]
	v_cmp_eq_u32_e64 s[8:9], 3, v134
	v_cndmask_b32_e64 v41, v41, v101, s[8:9]
	;; [unrolled: 2-line block ×7, first 2 shown]
	v_cndmask_b32_e32 v41, v98, v96, vcc
	v_cndmask_b32_e64 v41, v41, v94, s[4:5]
	v_cndmask_b32_e64 v41, v41, v100, s[8:9]
	;; [unrolled: 1-line block ×7, first 2 shown]
	v_cmp_ngt_f64_e32 vcc, 0, v[41:42]
	s_mov_b64 s[4:5], 0
	s_and_saveexec_b64 s[8:9], vcc
	s_xor_b64 s[8:9], exec, s[8:9]
	s_cbranch_execnz .LBB4_112
; %bb.110:                              ;   in Loop: Header=BB4_109 Depth=1
	s_or_saveexec_b64 s[8:9], s[8:9]
	v_mov_b32_e32 v41, 0x58
	s_xor_b64 exec, exec, s[8:9]
	s_cbranch_execnz .LBB4_113
.LBB4_111:                              ;   in Loop: Header=BB4_109 Depth=1
	s_or_b64 exec, exec, s[8:9]
	s_and_saveexec_b64 s[8:9], s[4:5]
	s_cbranch_execz .LBB4_108
	s_branch .LBB4_114
.LBB4_112:                              ;   in Loop: Header=BB4_109 Depth=1
	buffer_load_dword v39, off, s[0:3], 0 offset:88
	s_waitcnt vmcnt(0)
	v_cmp_eq_u32_e32 vcc, -1, v39
	s_and_b64 s[4:5], vcc, exec
                                        ; implicit-def: $vgpr39
	s_or_saveexec_b64 s[8:9], s[8:9]
	v_mov_b32_e32 v41, 0x58
	s_xor_b64 exec, exec, s[8:9]
	s_cbranch_execz .LBB4_111
.LBB4_113:                              ;   in Loop: Header=BB4_109 Depth=1
	buffer_load_dword v42, off, s[0:3], 0 offset:92
	v_mov_b32_e32 v41, 0x5c
	s_or_b64 s[4:5], s[4:5], exec
	s_waitcnt vmcnt(0)
	buffer_store_dword v42, v39, s[0:3], 0 offen
	s_or_b64 exec, exec, s[8:9]
	s_and_saveexec_b64 s[8:9], s[4:5]
	s_cbranch_execz .LBB4_108
.LBB4_114:                              ;   in Loop: Header=BB4_109 Depth=1
	buffer_store_dword v134, v41, s[0:3], 0 offen
	s_branch .LBB4_108
.LBB4_115:
	s_or_b64 exec, exec, s[20:21]
	s_and_saveexec_b64 s[4:5], s[6:7]
	s_cbranch_execz .LBB4_117
; %bb.116:
	v_max_f64 v[30:31], v[30:31], v[30:31]
	v_max_f64 v[32:33], v[32:33], v[32:33]
	v_min_f64 v[30:31], v[32:33], v[30:31]
	v_mov_b32_e32 v32, 0
	v_lshl_add_u32 v33, v36, 2, v32
	v_lshl_add_u32 v34, v40, 2, v32
	;; [unrolled: 1-line block ×3, first 2 shown]
	buffer_store_dword v40, v33, s[0:3], 0 offen
	v_cmp_ngt_f64_e32 vcc, 0, v[30:31]
	v_cndmask_b32_e32 v30, -1, v37, vcc
	buffer_store_dword v35, v34, s[0:3], 0 offen
	buffer_store_dword v30, v32, s[0:3], 0 offen
.LBB4_117:
	s_or_b64 exec, exec, s[4:5]
	buffer_load_dword v30, off, s[0:3], 0 offset:88
	s_waitcnt vmcnt(0)
	v_cmp_lt_i32_e32 vcc, -1, v30
	s_and_saveexec_b64 s[20:21], vcc
	s_cbranch_execz .LBB4_121
; %bb.118:
	s_mov_b64 s[22:23], 0
	v_mov_b32_e32 v31, 0
	v_mov_b32_e32 v32, v30
.LBB4_119:                              ; =>This Inner Loop Header: Depth=1
	v_lshl_add_u32 v37, v32, 2, v31
	v_cmp_eq_u32_e32 vcc, 1, v32
	v_cmp_eq_u32_e64 s[4:5], 2, v32
	v_cmp_eq_u32_e64 s[6:7], 3, v32
	;; [unrolled: 1-line block ×8, first 2 shown]
	buffer_load_dword v32, v37, s[0:3], 0 offen
	v_cndmask_b32_e32 v33, v1, v3, vcc
	v_cndmask_b32_e64 v33, v33, v5, s[4:5]
	v_cndmask_b32_e32 v34, v0, v2, vcc
	v_cndmask_b32_e64 v33, v33, v7, s[6:7]
	v_cndmask_b32_e64 v34, v34, v4, s[4:5]
	;; [unrolled: 1-line block ×13, first 2 shown]
	v_cndmask_b32_e32 v35, v83, v79, vcc
	v_cndmask_b32_e32 v36, v82, v78, vcc
	v_add_f64 v[33:34], -v[33:34], 1.0
	v_cndmask_b32_e64 v35, v35, v81, s[4:5]
	v_cndmask_b32_e64 v36, v36, v80, s[4:5]
	;; [unrolled: 1-line block ×14, first 2 shown]
	v_add_f64 v[33:34], v[33:34], -v[35:36]
	v_cndmask_b32_e32 v87, v87, v34, vcc
	v_cndmask_b32_e32 v86, v86, v33, vcc
	v_cndmask_b32_e64 v118, v118, v34, s[16:17]
	v_cndmask_b32_e64 v121, v121, v33, s[16:17]
	;; [unrolled: 1-line block ×16, first 2 shown]
	s_waitcnt vmcnt(0)
	v_cmp_gt_i32_e32 vcc, 0, v32
	s_or_b64 s[22:23], vcc, s[22:23]
	s_andn2_b64 exec, exec, s[22:23]
	s_cbranch_execnz .LBB4_119
; %bb.120:
	s_or_b64 exec, exec, s[22:23]
.LBB4_121:
	s_or_b64 exec, exec, s[20:21]
	v_cmp_lt_i32_e32 vcc, -1, v30
	s_and_saveexec_b64 s[18:19], vcc
	s_cbranch_execz .LBB4_127
; %bb.122:
	v_mov_b32_e32 v96, 0
	v_lshl_add_u32 v31, v30, 2, v96
	buffer_load_dword v36, v31, s[0:3], 0 offen
	s_waitcnt vmcnt(0)
	v_lshl_add_u32 v31, v36, 2, v96
	buffer_load_dword v97, v31, s[0:3], 0 offen
	s_waitcnt vmcnt(0)
	v_cmp_lt_i32_e32 vcc, -1, v97
	s_and_saveexec_b64 s[20:21], vcc
	s_cbranch_execz .LBB4_126
; %bb.123:
	v_cmp_eq_u32_e32 vcc, 1, v30
	v_cmp_eq_u32_e64 s[4:5], 2, v30
	v_cndmask_b32_e32 v32, v83, v79, vcc
	v_cndmask_b32_e32 v34, v89, v87, vcc
	v_cmp_eq_u32_e64 s[6:7], 3, v30
	v_cndmask_b32_e64 v32, v32, v81, s[4:5]
	v_cndmask_b32_e64 v34, v34, v85, s[4:5]
	v_cmp_eq_u32_e64 s[8:9], 4, v30
	v_cndmask_b32_e64 v32, v32, v91, s[6:7]
	v_cndmask_b32_e64 v34, v34, v19, s[6:7]
	;; [unrolled: 3-line block ×6, first 2 shown]
	v_cndmask_b32_e32 v31, v1, v3, vcc
	v_cndmask_b32_e32 v30, v0, v2, vcc
	v_cndmask_b32_e64 v33, v32, v111, s[16:17]
	v_cndmask_b32_e32 v32, v82, v78, vcc
	v_cndmask_b32_e64 v35, v34, v118, s[16:17]
	v_cndmask_b32_e32 v34, v88, v86, vcc
	v_cmp_eq_u32_e32 vcc, 1, v36
	v_cndmask_b32_e64 v31, v31, v5, s[4:5]
	v_cndmask_b32_e64 v30, v30, v4, s[4:5]
	;; [unrolled: 1-line block ×4, first 2 shown]
	v_cmp_eq_u32_e64 s[4:5], 2, v36
	v_cndmask_b32_e32 v38, v1, v3, vcc
	v_cndmask_b32_e64 v31, v31, v7, s[6:7]
	v_cndmask_b32_e64 v30, v30, v6, s[6:7]
	v_cndmask_b32_e64 v32, v32, v90, s[6:7]
	v_cndmask_b32_e64 v34, v34, v18, s[6:7]
	v_cmp_eq_u32_e64 s[6:7], 3, v36
	v_cndmask_b32_e64 v38, v38, v5, s[4:5]
	v_cndmask_b32_e64 v31, v31, v9, s[8:9]
	v_cndmask_b32_e64 v30, v30, v8, s[8:9]
	v_cndmask_b32_e64 v32, v32, v92, s[8:9]
	v_cndmask_b32_e64 v34, v34, v20, s[8:9]
	v_cmp_eq_u32_e64 s[8:9], 4, v36
	v_cndmask_b32_e64 v38, v38, v7, s[6:7]
	;; [unrolled: 6-line block ×6, first 2 shown]
	v_cndmask_b32_e32 v37, v83, v79, vcc
	v_cndmask_b32_e32 v36, v82, v78, vcc
	v_cndmask_b32_e64 v39, v38, v17, s[16:17]
	v_cndmask_b32_e32 v38, v0, v2, vcc
	v_cndmask_b32_e32 v42, v89, v87, vcc
	v_cndmask_b32_e64 v37, v37, v81, s[4:5]
	v_cndmask_b32_e64 v36, v36, v80, s[4:5]
	;; [unrolled: 1-line block ×28, first 2 shown]
	v_cndmask_b32_e32 v42, v88, v86, vcc
	v_add_f64 v[40:41], v[36:37], -v[32:33]
	v_add_f64 v[94:95], v[38:39], -v[30:31]
	v_cndmask_b32_e64 v48, v42, v84, s[4:5]
	v_mul_f64 v[42:43], v[30:31], v[34:35]
	v_mul_f64 v[44:45], v[32:33], v[34:35]
	;; [unrolled: 1-line block ×3, first 2 shown]
	v_cndmask_b32_e64 v48, v48, v18, s[6:7]
	v_cndmask_b32_e64 v48, v48, v20, s[8:9]
	;; [unrolled: 1-line block ×6, first 2 shown]
	s_mov_b64 s[16:17], 0
.LBB4_124:                              ; =>This Inner Loop Header: Depth=1
	v_cmp_eq_u32_e32 vcc, 1, v97
	v_lshl_add_u32 v107, v97, 2, v96
	v_cndmask_b32_e32 v106, v1, v3, vcc
	v_cmp_eq_u32_e64 s[4:5], 2, v97
	v_cndmask_b32_e32 v126, v0, v2, vcc
	v_cndmask_b32_e32 v127, v83, v79, vcc
	;; [unrolled: 1-line block ×5, first 2 shown]
	v_cmp_eq_u32_e32 vcc, 3, v97
	v_cmp_eq_u32_e64 s[6:7], 4, v97
	v_cmp_eq_u32_e64 s[8:9], 5, v97
	;; [unrolled: 1-line block ×5, first 2 shown]
	buffer_load_dword v97, v107, s[0:3], 0 offen
	v_cndmask_b32_e64 v106, v106, v5, s[4:5]
	v_cndmask_b32_e32 v106, v106, v7, vcc
	v_cndmask_b32_e64 v126, v126, v4, s[4:5]
	v_cndmask_b32_e64 v106, v106, v9, s[6:7]
	;; [unrolled: 1-line block ×3, first 2 shown]
	v_cndmask_b32_e32 v126, v126, v6, vcc
	v_cndmask_b32_e64 v106, v106, v11, s[8:9]
	v_cndmask_b32_e32 v107, v107, v90, vcc
	v_cndmask_b32_e64 v126, v126, v8, s[6:7]
	v_cndmask_b32_e64 v127, v127, v81, s[4:5]
	;; [unrolled: 1-line block ×6, first 2 shown]
	v_cndmask_b32_e32 v127, v127, v91, vcc
	v_cndmask_b32_e64 v107, v107, v117, s[8:9]
	v_cndmask_b32_e64 v126, v126, v12, s[10:11]
	;; [unrolled: 1-line block ×11, first 2 shown]
	v_add_f64 v[126:127], v[106:107], -v[30:31]
	v_cndmask_b32_e32 v128, v128, v19, vcc
	v_cndmask_b32_e32 v129, v129, v18, vcc
	v_cndmask_b32_e64 v128, v128, v21, s[6:7]
	v_cndmask_b32_e64 v129, v129, v20, s[6:7]
	;; [unrolled: 1-line block ×10, first 2 shown]
	v_add_f64 v[98:99], v[34:35], v[48:49]
	v_fma_f64 v[104:105], v[48:49], v[48:49], v[46:47]
	v_add_f64 v[130:131], v[128:129], -v[32:33]
	v_mul_f64 v[40:41], v[126:127], v[40:41]
	v_cndmask_b32_e64 v132, v132, v119, s[12:13]
	v_cndmask_b32_e64 v134, v133, v122, s[12:13]
	;; [unrolled: 1-line block ×4, first 2 shown]
	v_add_f64 v[100:101], v[30:31], v[38:39]
	v_add_f64 v[102:103], v[32:33], v[36:37]
	;; [unrolled: 1-line block ×3, first 2 shown]
	v_fma_f64 v[104:105], v[132:133], v[132:133], v[104:105]
	v_fma_f64 v[40:41], v[130:131], v[94:95], -v[40:41]
	v_fma_f64 v[38:39], v[38:39], v[48:49], v[42:43]
	v_fma_f64 v[36:37], v[36:37], v[48:49], v[44:45]
	v_add_f64 v[94:95], v[106:107], v[100:101]
	v_add_f64 v[100:101], v[128:129], v[102:103]
	v_fma_f64 v[102:103], v[34:35], v[48:49], v[104:105]
	v_mul_f64 v[104:105], v[98:99], v[40:41]
	v_fma_f64 v[38:39], v[106:107], v[132:133], v[38:39]
	v_fma_f64 v[36:37], v[128:129], v[132:133], v[36:37]
	;; [unrolled: 1-line block ×4, first 2 shown]
	v_mul_f64 v[94:95], v[94:95], v[104:105]
	v_mul_f64 v[100:101], v[100:101], v[104:105]
	v_fma_f64 v[48:49], v[48:49], v[132:133], v[102:103]
	v_fma_f64 v[38:39], v[40:41], v[38:39], v[94:95]
	;; [unrolled: 1-line block ×3, first 2 shown]
	v_mov_b32_e32 v94, v126
	v_mov_b32_e32 v95, v127
	s_waitcnt vmcnt(0)
	v_cmp_gt_i32_e32 vcc, 0, v97
	s_or_b64 s[16:17], vcc, s[16:17]
	v_fma_f64 v[22:23], v[40:41], v[48:49], v[22:23]
	v_add_f64 v[28:29], v[28:29], v[38:39]
	v_add_f64 v[24:25], v[24:25], v[36:37]
	v_mov_b32_e32 v38, v106
	v_mov_b32_e32 v36, v128
	;; [unrolled: 1-line block ×8, first 2 shown]
	s_andn2_b64 exec, exec, s[16:17]
	s_cbranch_execnz .LBB4_124
; %bb.125:
	s_or_b64 exec, exec, s[16:17]
.LBB4_126:
	s_or_b64 exec, exec, s[20:21]
.LBB4_127:
	s_or_b64 exec, exec, s[18:19]
	s_mov_b32 s5, 0x3fc55555
	s_mov_b32 s4, 0x55555555
	v_mul_f64 v[0:1], v[26:27], s[4:5]
	s_mov_b32 s5, 0x3fa55555
	v_mul_f64 v[2:3], v[28:29], s[4:5]
	v_mul_f64 v[8:9], v[24:25], s[4:5]
	;; [unrolled: 1-line block ×3, first 2 shown]
	v_fma_f64 v[24:25], v[76:77], v[0:1], 0
	v_mul_f64 v[4:5], v[72:73], v[2:3]
	v_mul_f64 v[6:7], v[74:75], v[2:3]
	;; [unrolled: 1-line block ×3, first 2 shown]
	v_fma_f64 v[4:5], v[58:59], v[0:1], v[4:5]
	v_fma_f64 v[6:7], v[54:55], v[0:1], v[6:7]
	;; [unrolled: 1-line block ×12, first 2 shown]
.LBB4_128:
	s_or_b64 exec, exec, s[94:95]
	s_movk_i32 s6, 0x48
	v_mad_u64_u32 v[6:7], s[4:5], v56, s6, 0
	v_and_b32_e32 v0, 0xffffffc0, v108
	v_mov_b32_e32 v4, 0
	v_mov_b32_e32 v1, v7
	v_mad_u64_u32 v[7:8], s[4:5], v57, s6, v[1:2]
	v_mov_b32_e32 v1, v109
	v_mov_b32_e32 v2, v24
	v_cmp_gt_i64_e32 vcc, v[6:7], v[0:1]
	v_mov_b32_e32 v6, v18
	v_mov_b32_e32 v8, v22
	;; [unrolled: 1-line block ×14, first 2 shown]
	s_and_saveexec_b64 s[4:5], vcc
	s_cbranch_execz .LBB4_130
; %bb.129:
	v_mov_b32_e32 v2, 0
	v_mov_b32_e32 v6, 0
	v_mov_b32_e32 v8, 0
	v_mov_b32_e32 v14, 0
	v_mov_b32_e32 v4, v20
	v_mov_b32_e32 v10, v22
	v_mov_b32_e32 v12, v18
	v_mov_b32_e32 v16, v24
	v_mov_b32_e32 v3, 0
	v_mov_b32_e32 v7, 0
	v_mov_b32_e32 v9, 0
	v_mov_b32_e32 v15, 0
	v_mov_b32_e32 v5, v21
	v_mov_b32_e32 v11, v23
	v_mov_b32_e32 v13, v19
	v_mov_b32_e32 v17, v25
.LBB4_130:
	s_or_b64 exec, exec, s[4:5]
	v_mbcnt_lo_u32_b32 v18, -1, 0
	v_mbcnt_hi_u32_b32 v18, -1, v18
	v_and_b32_e32 v19, 64, v18
	v_add_u32_e32 v19, 64, v19
	s_mov_b64 s[4:5], 1
	; wave barrier
.LBB4_131:                              ; =>This Inner Loop Header: Depth=1
	v_xor_b32_e32 v20, s4, v18
	v_cmp_lt_i32_e32 vcc, v20, v19
	v_cndmask_b32_e32 v20, v18, v20, vcc
	v_lshlrev_b32_e32 v35, 2, v20
	ds_bpermute_b32 v20, v35, v16
	ds_bpermute_b32 v21, v35, v17
	;; [unrolled: 1-line block ×16, first 2 shown]
	s_waitcnt lgkmcnt(14)
	v_add_f64 v[16:17], v[16:17], v[20:21]
	s_waitcnt lgkmcnt(12)
	v_add_f64 v[12:13], v[12:13], v[22:23]
	s_waitcnt lgkmcnt(10)
	v_add_f64 v[10:11], v[10:11], v[24:25]
	s_waitcnt lgkmcnt(8)
	v_add_f64 v[4:5], v[4:5], v[26:27]
	s_waitcnt lgkmcnt(6)
	v_add_f64 v[2:3], v[2:3], v[28:29]
	s_waitcnt lgkmcnt(4)
	v_add_f64 v[6:7], v[6:7], v[30:31]
	s_waitcnt lgkmcnt(2)
	v_add_f64 v[8:9], v[8:9], v[32:33]
	s_waitcnt lgkmcnt(0)
	v_add_f64 v[14:15], v[14:15], v[34:35]
	v_cmp_gt_u64_e64 s[8:9], s[4:5], 31
	s_lshl_b64 s[6:7], s[4:5], 1
	s_mov_b64 s[4:5], s[6:7]
	s_and_b64 vcc, exec, s[8:9]
	s_cbranch_vccz .LBB4_131
; %bb.132:
	v_and_b32_e32 v18, 63, v108
	v_mov_b32_e32 v19, 0
	v_cmp_eq_u64_e32 vcc, 0, v[18:19]
	s_and_saveexec_b64 s[4:5], vcc
	s_cbranch_execz .LBB4_134
; %bb.133:
	ds_write2_b64 v19, v[2:3], v[6:7] offset1:2
	ds_write2_b64 v19, v[8:9], v[14:15] offset0:4 offset1:6
	ds_write2_b64 v19, v[16:17], v[12:13] offset0:8 offset1:10
	;; [unrolled: 1-line block ×3, first 2 shown]
.LBB4_134:
	s_or_b64 exec, exec, s[4:5]
	v_cmp_gt_u64_e32 vcc, 8, v[18:19]
	s_waitcnt lgkmcnt(0)
	; wave barrier
	s_and_b64 exec, exec, vcc
	s_cbranch_execz .LBB4_136
; %bb.135:
	v_mov_b32_e32 v2, s93
	v_add_co_u32_e32 v3, vcc, s92, v0
	v_lshlrev_b32_e32 v0, 4, v18
	v_addc_co_u32_e32 v4, vcc, v2, v1, vcc
	ds_read_b64 v[0:1], v0
	v_lshlrev_b32_e32 v2, 3, v18
	v_add_co_u32_e32 v2, vcc, v3, v2
	v_addc_co_u32_e32 v3, vcc, 0, v4, vcc
	s_waitcnt lgkmcnt(0)
	global_store_dwordx2 v[2:3], v[0:1], off
.LBB4_136:
	s_endpgm
	.section	.rodata,"a",@progbits
	.p2align	6, 0x0
	.amdhsa_kernel _ZN4RAJA6policy3hip4impl18forallp_hip_kernelINS1_8hip_execINS_17iteration_mapping6DirectENS_3hip11IndexGlobalILNS_9named_dimE0ELi64ELi0EEENS7_40AvoidDeviceMaxThreadOccupancyConcretizerINS7_34FractionOffsetOccupancyConcretizerINS_8FractionImLm1ELm1EEELln1EEEEELb1EEENS_9Iterators16numeric_iteratorIllPlEEZN8rajaperf4apps12INTSC_HEXHEX17runHipVariantImplILm64EEEvNSM_9VariantIDEEUllE1_lNS_4expt15ForallParamPackIJEEES6_SA_TnNSt9enable_ifIXaasr3std10is_base_ofINS5_10DirectBaseET4_EE5valuegtsrT5_10block_sizeLi0EEmE4typeELm64EEEvT1_T0_T2_T3_
		.amdhsa_group_segment_fixed_size 128
		.amdhsa_private_segment_fixed_size 112
		.amdhsa_kernarg_size 52
		.amdhsa_user_sgpr_count 6
		.amdhsa_user_sgpr_private_segment_buffer 1
		.amdhsa_user_sgpr_dispatch_ptr 0
		.amdhsa_user_sgpr_queue_ptr 0
		.amdhsa_user_sgpr_kernarg_segment_ptr 1
		.amdhsa_user_sgpr_dispatch_id 0
		.amdhsa_user_sgpr_flat_scratch_init 0
		.amdhsa_user_sgpr_private_segment_size 0
		.amdhsa_uses_dynamic_stack 0
		.amdhsa_system_sgpr_private_segment_wavefront_offset 1
		.amdhsa_system_sgpr_workgroup_id_x 1
		.amdhsa_system_sgpr_workgroup_id_y 0
		.amdhsa_system_sgpr_workgroup_id_z 0
		.amdhsa_system_sgpr_workgroup_info 0
		.amdhsa_system_vgpr_workitem_id 0
		.amdhsa_next_free_vgpr 157
		.amdhsa_next_free_sgpr 100
		.amdhsa_reserve_vcc 1
		.amdhsa_reserve_flat_scratch 0
		.amdhsa_float_round_mode_32 0
		.amdhsa_float_round_mode_16_64 0
		.amdhsa_float_denorm_mode_32 3
		.amdhsa_float_denorm_mode_16_64 3
		.amdhsa_dx10_clamp 1
		.amdhsa_ieee_mode 1
		.amdhsa_fp16_overflow 0
		.amdhsa_exception_fp_ieee_invalid_op 0
		.amdhsa_exception_fp_denorm_src 0
		.amdhsa_exception_fp_ieee_div_zero 0
		.amdhsa_exception_fp_ieee_overflow 0
		.amdhsa_exception_fp_ieee_underflow 0
		.amdhsa_exception_fp_ieee_inexact 0
		.amdhsa_exception_int_div_zero 0
	.end_amdhsa_kernel
	.section	.text._ZN4RAJA6policy3hip4impl18forallp_hip_kernelINS1_8hip_execINS_17iteration_mapping6DirectENS_3hip11IndexGlobalILNS_9named_dimE0ELi64ELi0EEENS7_40AvoidDeviceMaxThreadOccupancyConcretizerINS7_34FractionOffsetOccupancyConcretizerINS_8FractionImLm1ELm1EEELln1EEEEELb1EEENS_9Iterators16numeric_iteratorIllPlEEZN8rajaperf4apps12INTSC_HEXHEX17runHipVariantImplILm64EEEvNSM_9VariantIDEEUllE1_lNS_4expt15ForallParamPackIJEEES6_SA_TnNSt9enable_ifIXaasr3std10is_base_ofINS5_10DirectBaseET4_EE5valuegtsrT5_10block_sizeLi0EEmE4typeELm64EEEvT1_T0_T2_T3_,"axG",@progbits,_ZN4RAJA6policy3hip4impl18forallp_hip_kernelINS1_8hip_execINS_17iteration_mapping6DirectENS_3hip11IndexGlobalILNS_9named_dimE0ELi64ELi0EEENS7_40AvoidDeviceMaxThreadOccupancyConcretizerINS7_34FractionOffsetOccupancyConcretizerINS_8FractionImLm1ELm1EEELln1EEEEELb1EEENS_9Iterators16numeric_iteratorIllPlEEZN8rajaperf4apps12INTSC_HEXHEX17runHipVariantImplILm64EEEvNSM_9VariantIDEEUllE1_lNS_4expt15ForallParamPackIJEEES6_SA_TnNSt9enable_ifIXaasr3std10is_base_ofINS5_10DirectBaseET4_EE5valuegtsrT5_10block_sizeLi0EEmE4typeELm64EEEvT1_T0_T2_T3_,comdat
.Lfunc_end4:
	.size	_ZN4RAJA6policy3hip4impl18forallp_hip_kernelINS1_8hip_execINS_17iteration_mapping6DirectENS_3hip11IndexGlobalILNS_9named_dimE0ELi64ELi0EEENS7_40AvoidDeviceMaxThreadOccupancyConcretizerINS7_34FractionOffsetOccupancyConcretizerINS_8FractionImLm1ELm1EEELln1EEEEELb1EEENS_9Iterators16numeric_iteratorIllPlEEZN8rajaperf4apps12INTSC_HEXHEX17runHipVariantImplILm64EEEvNSM_9VariantIDEEUllE1_lNS_4expt15ForallParamPackIJEEES6_SA_TnNSt9enable_ifIXaasr3std10is_base_ofINS5_10DirectBaseET4_EE5valuegtsrT5_10block_sizeLi0EEmE4typeELm64EEEvT1_T0_T2_T3_, .Lfunc_end4-_ZN4RAJA6policy3hip4impl18forallp_hip_kernelINS1_8hip_execINS_17iteration_mapping6DirectENS_3hip11IndexGlobalILNS_9named_dimE0ELi64ELi0EEENS7_40AvoidDeviceMaxThreadOccupancyConcretizerINS7_34FractionOffsetOccupancyConcretizerINS_8FractionImLm1ELm1EEELln1EEEEELb1EEENS_9Iterators16numeric_iteratorIllPlEEZN8rajaperf4apps12INTSC_HEXHEX17runHipVariantImplILm64EEEvNSM_9VariantIDEEUllE1_lNS_4expt15ForallParamPackIJEEES6_SA_TnNSt9enable_ifIXaasr3std10is_base_ofINS5_10DirectBaseET4_EE5valuegtsrT5_10block_sizeLi0EEmE4typeELm64EEEvT1_T0_T2_T3_
                                        ; -- End function
	.set _ZN4RAJA6policy3hip4impl18forallp_hip_kernelINS1_8hip_execINS_17iteration_mapping6DirectENS_3hip11IndexGlobalILNS_9named_dimE0ELi64ELi0EEENS7_40AvoidDeviceMaxThreadOccupancyConcretizerINS7_34FractionOffsetOccupancyConcretizerINS_8FractionImLm1ELm1EEELln1EEEEELb1EEENS_9Iterators16numeric_iteratorIllPlEEZN8rajaperf4apps12INTSC_HEXHEX17runHipVariantImplILm64EEEvNSM_9VariantIDEEUllE1_lNS_4expt15ForallParamPackIJEEES6_SA_TnNSt9enable_ifIXaasr3std10is_base_ofINS5_10DirectBaseET4_EE5valuegtsrT5_10block_sizeLi0EEmE4typeELm64EEEvT1_T0_T2_T3_.num_vgpr, 157
	.set _ZN4RAJA6policy3hip4impl18forallp_hip_kernelINS1_8hip_execINS_17iteration_mapping6DirectENS_3hip11IndexGlobalILNS_9named_dimE0ELi64ELi0EEENS7_40AvoidDeviceMaxThreadOccupancyConcretizerINS7_34FractionOffsetOccupancyConcretizerINS_8FractionImLm1ELm1EEELln1EEEEELb1EEENS_9Iterators16numeric_iteratorIllPlEEZN8rajaperf4apps12INTSC_HEXHEX17runHipVariantImplILm64EEEvNSM_9VariantIDEEUllE1_lNS_4expt15ForallParamPackIJEEES6_SA_TnNSt9enable_ifIXaasr3std10is_base_ofINS5_10DirectBaseET4_EE5valuegtsrT5_10block_sizeLi0EEmE4typeELm64EEEvT1_T0_T2_T3_.num_agpr, 0
	.set _ZN4RAJA6policy3hip4impl18forallp_hip_kernelINS1_8hip_execINS_17iteration_mapping6DirectENS_3hip11IndexGlobalILNS_9named_dimE0ELi64ELi0EEENS7_40AvoidDeviceMaxThreadOccupancyConcretizerINS7_34FractionOffsetOccupancyConcretizerINS_8FractionImLm1ELm1EEELln1EEEEELb1EEENS_9Iterators16numeric_iteratorIllPlEEZN8rajaperf4apps12INTSC_HEXHEX17runHipVariantImplILm64EEEvNSM_9VariantIDEEUllE1_lNS_4expt15ForallParamPackIJEEES6_SA_TnNSt9enable_ifIXaasr3std10is_base_ofINS5_10DirectBaseET4_EE5valuegtsrT5_10block_sizeLi0EEmE4typeELm64EEEvT1_T0_T2_T3_.numbered_sgpr, 100
	.set _ZN4RAJA6policy3hip4impl18forallp_hip_kernelINS1_8hip_execINS_17iteration_mapping6DirectENS_3hip11IndexGlobalILNS_9named_dimE0ELi64ELi0EEENS7_40AvoidDeviceMaxThreadOccupancyConcretizerINS7_34FractionOffsetOccupancyConcretizerINS_8FractionImLm1ELm1EEELln1EEEEELb1EEENS_9Iterators16numeric_iteratorIllPlEEZN8rajaperf4apps12INTSC_HEXHEX17runHipVariantImplILm64EEEvNSM_9VariantIDEEUllE1_lNS_4expt15ForallParamPackIJEEES6_SA_TnNSt9enable_ifIXaasr3std10is_base_ofINS5_10DirectBaseET4_EE5valuegtsrT5_10block_sizeLi0EEmE4typeELm64EEEvT1_T0_T2_T3_.num_named_barrier, 0
	.set _ZN4RAJA6policy3hip4impl18forallp_hip_kernelINS1_8hip_execINS_17iteration_mapping6DirectENS_3hip11IndexGlobalILNS_9named_dimE0ELi64ELi0EEENS7_40AvoidDeviceMaxThreadOccupancyConcretizerINS7_34FractionOffsetOccupancyConcretizerINS_8FractionImLm1ELm1EEELln1EEEEELb1EEENS_9Iterators16numeric_iteratorIllPlEEZN8rajaperf4apps12INTSC_HEXHEX17runHipVariantImplILm64EEEvNSM_9VariantIDEEUllE1_lNS_4expt15ForallParamPackIJEEES6_SA_TnNSt9enable_ifIXaasr3std10is_base_ofINS5_10DirectBaseET4_EE5valuegtsrT5_10block_sizeLi0EEmE4typeELm64EEEvT1_T0_T2_T3_.private_seg_size, 112
	.set _ZN4RAJA6policy3hip4impl18forallp_hip_kernelINS1_8hip_execINS_17iteration_mapping6DirectENS_3hip11IndexGlobalILNS_9named_dimE0ELi64ELi0EEENS7_40AvoidDeviceMaxThreadOccupancyConcretizerINS7_34FractionOffsetOccupancyConcretizerINS_8FractionImLm1ELm1EEELln1EEEEELb1EEENS_9Iterators16numeric_iteratorIllPlEEZN8rajaperf4apps12INTSC_HEXHEX17runHipVariantImplILm64EEEvNSM_9VariantIDEEUllE1_lNS_4expt15ForallParamPackIJEEES6_SA_TnNSt9enable_ifIXaasr3std10is_base_ofINS5_10DirectBaseET4_EE5valuegtsrT5_10block_sizeLi0EEmE4typeELm64EEEvT1_T0_T2_T3_.uses_vcc, 1
	.set _ZN4RAJA6policy3hip4impl18forallp_hip_kernelINS1_8hip_execINS_17iteration_mapping6DirectENS_3hip11IndexGlobalILNS_9named_dimE0ELi64ELi0EEENS7_40AvoidDeviceMaxThreadOccupancyConcretizerINS7_34FractionOffsetOccupancyConcretizerINS_8FractionImLm1ELm1EEELln1EEEEELb1EEENS_9Iterators16numeric_iteratorIllPlEEZN8rajaperf4apps12INTSC_HEXHEX17runHipVariantImplILm64EEEvNSM_9VariantIDEEUllE1_lNS_4expt15ForallParamPackIJEEES6_SA_TnNSt9enable_ifIXaasr3std10is_base_ofINS5_10DirectBaseET4_EE5valuegtsrT5_10block_sizeLi0EEmE4typeELm64EEEvT1_T0_T2_T3_.uses_flat_scratch, 0
	.set _ZN4RAJA6policy3hip4impl18forallp_hip_kernelINS1_8hip_execINS_17iteration_mapping6DirectENS_3hip11IndexGlobalILNS_9named_dimE0ELi64ELi0EEENS7_40AvoidDeviceMaxThreadOccupancyConcretizerINS7_34FractionOffsetOccupancyConcretizerINS_8FractionImLm1ELm1EEELln1EEEEELb1EEENS_9Iterators16numeric_iteratorIllPlEEZN8rajaperf4apps12INTSC_HEXHEX17runHipVariantImplILm64EEEvNSM_9VariantIDEEUllE1_lNS_4expt15ForallParamPackIJEEES6_SA_TnNSt9enable_ifIXaasr3std10is_base_ofINS5_10DirectBaseET4_EE5valuegtsrT5_10block_sizeLi0EEmE4typeELm64EEEvT1_T0_T2_T3_.has_dyn_sized_stack, 0
	.set _ZN4RAJA6policy3hip4impl18forallp_hip_kernelINS1_8hip_execINS_17iteration_mapping6DirectENS_3hip11IndexGlobalILNS_9named_dimE0ELi64ELi0EEENS7_40AvoidDeviceMaxThreadOccupancyConcretizerINS7_34FractionOffsetOccupancyConcretizerINS_8FractionImLm1ELm1EEELln1EEEEELb1EEENS_9Iterators16numeric_iteratorIllPlEEZN8rajaperf4apps12INTSC_HEXHEX17runHipVariantImplILm64EEEvNSM_9VariantIDEEUllE1_lNS_4expt15ForallParamPackIJEEES6_SA_TnNSt9enable_ifIXaasr3std10is_base_ofINS5_10DirectBaseET4_EE5valuegtsrT5_10block_sizeLi0EEmE4typeELm64EEEvT1_T0_T2_T3_.has_recursion, 0
	.set _ZN4RAJA6policy3hip4impl18forallp_hip_kernelINS1_8hip_execINS_17iteration_mapping6DirectENS_3hip11IndexGlobalILNS_9named_dimE0ELi64ELi0EEENS7_40AvoidDeviceMaxThreadOccupancyConcretizerINS7_34FractionOffsetOccupancyConcretizerINS_8FractionImLm1ELm1EEELln1EEEEELb1EEENS_9Iterators16numeric_iteratorIllPlEEZN8rajaperf4apps12INTSC_HEXHEX17runHipVariantImplILm64EEEvNSM_9VariantIDEEUllE1_lNS_4expt15ForallParamPackIJEEES6_SA_TnNSt9enable_ifIXaasr3std10is_base_ofINS5_10DirectBaseET4_EE5valuegtsrT5_10block_sizeLi0EEmE4typeELm64EEEvT1_T0_T2_T3_.has_indirect_call, 0
	.section	.AMDGPU.csdata,"",@progbits
; Kernel info:
; codeLenInByte = 36504
; TotalNumSgprs: 104
; NumVgprs: 157
; ScratchSize: 112
; MemoryBound: 0
; FloatMode: 240
; IeeeMode: 1
; LDSByteSize: 128 bytes/workgroup (compile time only)
; SGPRBlocks: 12
; VGPRBlocks: 39
; NumSGPRsForWavesPerEU: 104
; NumVGPRsForWavesPerEU: 157
; Occupancy: 1
; WaveLimiterHint : 0
; COMPUTE_PGM_RSRC2:SCRATCH_EN: 1
; COMPUTE_PGM_RSRC2:USER_SGPR: 6
; COMPUTE_PGM_RSRC2:TRAP_HANDLER: 0
; COMPUTE_PGM_RSRC2:TGID_X_EN: 1
; COMPUTE_PGM_RSRC2:TGID_Y_EN: 0
; COMPUTE_PGM_RSRC2:TGID_Z_EN: 0
; COMPUTE_PGM_RSRC2:TIDIG_COMP_CNT: 0
	.section	.text._ZN4RAJA6policy3hip4impl18forallp_hip_kernelINS1_8hip_execINS_17iteration_mapping6DirectENS_3hip11IndexGlobalILNS_9named_dimE0ELi64ELi0EEENS7_40AvoidDeviceMaxThreadOccupancyConcretizerINS7_34FractionOffsetOccupancyConcretizerINS_8FractionImLm1ELm1EEELln1EEEEELb1EEENS_9Iterators16numeric_iteratorIllPlEEZN8rajaperf4apps12INTSC_HEXHEX17runHipVariantImplILm64EEEvNSM_9VariantIDEEUllE2_lNS_4expt15ForallParamPackIJEEES6_SA_TnNSt9enable_ifIXaasr3std10is_base_ofINS5_10DirectBaseET4_EE5valuegtsrT5_10block_sizeLi0EEmE4typeELm64EEEvT1_T0_T2_T3_,"axG",@progbits,_ZN4RAJA6policy3hip4impl18forallp_hip_kernelINS1_8hip_execINS_17iteration_mapping6DirectENS_3hip11IndexGlobalILNS_9named_dimE0ELi64ELi0EEENS7_40AvoidDeviceMaxThreadOccupancyConcretizerINS7_34FractionOffsetOccupancyConcretizerINS_8FractionImLm1ELm1EEELln1EEEEELb1EEENS_9Iterators16numeric_iteratorIllPlEEZN8rajaperf4apps12INTSC_HEXHEX17runHipVariantImplILm64EEEvNSM_9VariantIDEEUllE2_lNS_4expt15ForallParamPackIJEEES6_SA_TnNSt9enable_ifIXaasr3std10is_base_ofINS5_10DirectBaseET4_EE5valuegtsrT5_10block_sizeLi0EEmE4typeELm64EEEvT1_T0_T2_T3_,comdat
	.protected	_ZN4RAJA6policy3hip4impl18forallp_hip_kernelINS1_8hip_execINS_17iteration_mapping6DirectENS_3hip11IndexGlobalILNS_9named_dimE0ELi64ELi0EEENS7_40AvoidDeviceMaxThreadOccupancyConcretizerINS7_34FractionOffsetOccupancyConcretizerINS_8FractionImLm1ELm1EEELln1EEEEELb1EEENS_9Iterators16numeric_iteratorIllPlEEZN8rajaperf4apps12INTSC_HEXHEX17runHipVariantImplILm64EEEvNSM_9VariantIDEEUllE2_lNS_4expt15ForallParamPackIJEEES6_SA_TnNSt9enable_ifIXaasr3std10is_base_ofINS5_10DirectBaseET4_EE5valuegtsrT5_10block_sizeLi0EEmE4typeELm64EEEvT1_T0_T2_T3_ ; -- Begin function _ZN4RAJA6policy3hip4impl18forallp_hip_kernelINS1_8hip_execINS_17iteration_mapping6DirectENS_3hip11IndexGlobalILNS_9named_dimE0ELi64ELi0EEENS7_40AvoidDeviceMaxThreadOccupancyConcretizerINS7_34FractionOffsetOccupancyConcretizerINS_8FractionImLm1ELm1EEELln1EEEEELb1EEENS_9Iterators16numeric_iteratorIllPlEEZN8rajaperf4apps12INTSC_HEXHEX17runHipVariantImplILm64EEEvNSM_9VariantIDEEUllE2_lNS_4expt15ForallParamPackIJEEES6_SA_TnNSt9enable_ifIXaasr3std10is_base_ofINS5_10DirectBaseET4_EE5valuegtsrT5_10block_sizeLi0EEmE4typeELm64EEEvT1_T0_T2_T3_
	.globl	_ZN4RAJA6policy3hip4impl18forallp_hip_kernelINS1_8hip_execINS_17iteration_mapping6DirectENS_3hip11IndexGlobalILNS_9named_dimE0ELi64ELi0EEENS7_40AvoidDeviceMaxThreadOccupancyConcretizerINS7_34FractionOffsetOccupancyConcretizerINS_8FractionImLm1ELm1EEELln1EEEEELb1EEENS_9Iterators16numeric_iteratorIllPlEEZN8rajaperf4apps12INTSC_HEXHEX17runHipVariantImplILm64EEEvNSM_9VariantIDEEUllE2_lNS_4expt15ForallParamPackIJEEES6_SA_TnNSt9enable_ifIXaasr3std10is_base_ofINS5_10DirectBaseET4_EE5valuegtsrT5_10block_sizeLi0EEmE4typeELm64EEEvT1_T0_T2_T3_
	.p2align	8
	.type	_ZN4RAJA6policy3hip4impl18forallp_hip_kernelINS1_8hip_execINS_17iteration_mapping6DirectENS_3hip11IndexGlobalILNS_9named_dimE0ELi64ELi0EEENS7_40AvoidDeviceMaxThreadOccupancyConcretizerINS7_34FractionOffsetOccupancyConcretizerINS_8FractionImLm1ELm1EEELln1EEEEELb1EEENS_9Iterators16numeric_iteratorIllPlEEZN8rajaperf4apps12INTSC_HEXHEX17runHipVariantImplILm64EEEvNSM_9VariantIDEEUllE2_lNS_4expt15ForallParamPackIJEEES6_SA_TnNSt9enable_ifIXaasr3std10is_base_ofINS5_10DirectBaseET4_EE5valuegtsrT5_10block_sizeLi0EEmE4typeELm64EEEvT1_T0_T2_T3_,@function
_ZN4RAJA6policy3hip4impl18forallp_hip_kernelINS1_8hip_execINS_17iteration_mapping6DirectENS_3hip11IndexGlobalILNS_9named_dimE0ELi64ELi0EEENS7_40AvoidDeviceMaxThreadOccupancyConcretizerINS7_34FractionOffsetOccupancyConcretizerINS_8FractionImLm1ELm1EEELln1EEEEELb1EEENS_9Iterators16numeric_iteratorIllPlEEZN8rajaperf4apps12INTSC_HEXHEX17runHipVariantImplILm64EEEvNSM_9VariantIDEEUllE2_lNS_4expt15ForallParamPackIJEEES6_SA_TnNSt9enable_ifIXaasr3std10is_base_ofINS5_10DirectBaseET4_EE5valuegtsrT5_10block_sizeLi0EEmE4typeELm64EEEvT1_T0_T2_T3_: ; @_ZN4RAJA6policy3hip4impl18forallp_hip_kernelINS1_8hip_execINS_17iteration_mapping6DirectENS_3hip11IndexGlobalILNS_9named_dimE0ELi64ELi0EEENS7_40AvoidDeviceMaxThreadOccupancyConcretizerINS7_34FractionOffsetOccupancyConcretizerINS_8FractionImLm1ELm1EEELln1EEEEELb1EEENS_9Iterators16numeric_iteratorIllPlEEZN8rajaperf4apps12INTSC_HEXHEX17runHipVariantImplILm64EEEvNSM_9VariantIDEEUllE2_lNS_4expt15ForallParamPackIJEEES6_SA_TnNSt9enable_ifIXaasr3std10is_base_ofINS5_10DirectBaseET4_EE5valuegtsrT5_10block_sizeLi0EEmE4typeELm64EEEvT1_T0_T2_T3_
; %bb.0:
	s_load_dwordx2 s[0:1], s[4:5], 0x20
	s_mov_b32 s7, 0
	s_lshl_b64 s[2:3], s[6:7], 6
	v_or_b32_e32 v0, s2, v0
	v_mov_b32_e32 v1, s3
	s_waitcnt lgkmcnt(0)
	v_cmp_gt_i64_e32 vcc, s[0:1], v[0:1]
	s_and_saveexec_b64 s[0:1], vcc
	s_cbranch_execz .LBB5_17
; %bb.1:
	s_load_dwordx8 s[8:15], s[4:5], 0x0
	s_movk_i32 s2, 0x240
	s_waitcnt lgkmcnt(0)
	v_mov_b32_e32 v2, s10
	v_mov_b32_e32 v3, s11
	;; [unrolled: 1-line block ×3, first 2 shown]
	v_add_co_u32_e32 v4, vcc, s14, v0
	v_addc_co_u32_e32 v5, vcc, v1, v5, vcc
	v_mad_u64_u32 v[0:1], s[0:1], v4, s2, v[2:3]
	v_lshlrev_b64 v[2:3], 8, v[4:5]
	v_mov_b32_e32 v8, s9
	v_mad_u64_u32 v[6:7], s[0:1], v5, s2, v[1:2]
	v_lshlrev_b64 v[4:5], 3, v[4:5]
	v_add_co_u32_e32 v2, vcc, s8, v2
	v_addc_co_u32_e32 v3, vcc, v8, v3, vcc
	v_cmp_gt_u64_e32 vcc, s[12:13], v[4:5]
	v_mov_b32_e32 v1, v6
	s_and_saveexec_b64 s[0:1], vcc
	s_cbranch_execz .LBB5_3
; %bb.2:
	global_load_dwordx2 v[6:7], v[0:1], off
	global_load_dwordx2 v[8:9], v[0:1], off offset:64
	s_waitcnt vmcnt(0)
	v_add_f64 v[6:7], v[6:7], v[8:9]
	global_store_dwordx2 v[2:3], v[6:7], off
	global_load_dwordx2 v[6:7], v[0:1], off offset:8
	s_nop 0
	global_load_dwordx2 v[8:9], v[0:1], off offset:72
	s_waitcnt vmcnt(0)
	v_add_f64 v[6:7], v[6:7], v[8:9]
	global_store_dwordx2 v[2:3], v[6:7], off offset:8
	global_load_dwordx2 v[6:7], v[0:1], off offset:16
	s_nop 0
	global_load_dwordx2 v[8:9], v[0:1], off offset:80
	s_waitcnt vmcnt(0)
	v_add_f64 v[6:7], v[6:7], v[8:9]
	global_store_dwordx2 v[2:3], v[6:7], off offset:16
	;; [unrolled: 6-line block ×3, first 2 shown]
.LBB5_3:
	s_or_b64 exec, exec, s[0:1]
	v_or_b32_e32 v6, 1, v4
	v_mov_b32_e32 v7, v5
	v_cmp_gt_u64_e32 vcc, s[12:13], v[6:7]
	s_and_saveexec_b64 s[0:1], vcc
	s_cbranch_execz .LBB5_5
; %bb.4:
	global_load_dwordx2 v[6:7], v[0:1], off offset:96
	global_load_dwordx2 v[8:9], v[0:1], off offset:128
	s_waitcnt vmcnt(0)
	v_add_f64 v[6:7], v[6:7], v[8:9]
	global_store_dwordx2 v[2:3], v[6:7], off offset:32
	global_load_dwordx2 v[6:7], v[0:1], off offset:104
	s_nop 0
	global_load_dwordx2 v[8:9], v[0:1], off offset:136
	s_waitcnt vmcnt(0)
	v_add_f64 v[6:7], v[6:7], v[8:9]
	global_store_dwordx2 v[2:3], v[6:7], off offset:40
	global_load_dwordx2 v[6:7], v[0:1], off offset:112
	s_nop 0
	global_load_dwordx2 v[8:9], v[0:1], off offset:144
	s_waitcnt vmcnt(0)
	v_add_f64 v[6:7], v[6:7], v[8:9]
	global_store_dwordx2 v[2:3], v[6:7], off offset:48
	global_load_dwordx2 v[6:7], v[0:1], off offset:120
	s_nop 0
	global_load_dwordx2 v[8:9], v[0:1], off offset:152
	s_waitcnt vmcnt(0)
	v_add_f64 v[6:7], v[6:7], v[8:9]
	global_store_dwordx2 v[2:3], v[6:7], off offset:56
.LBB5_5:
	s_or_b64 exec, exec, s[0:1]
	v_or_b32_e32 v6, 2, v4
	v_mov_b32_e32 v7, v5
	v_cmp_gt_u64_e32 vcc, s[12:13], v[6:7]
	s_and_saveexec_b64 s[0:1], vcc
	s_cbranch_execz .LBB5_7
; %bb.6:
	global_load_dwordx2 v[6:7], v[0:1], off offset:160
	global_load_dwordx2 v[8:9], v[0:1], off offset:192
	s_waitcnt vmcnt(0)
	v_add_f64 v[6:7], v[6:7], v[8:9]
	global_store_dwordx2 v[2:3], v[6:7], off offset:64
	global_load_dwordx2 v[6:7], v[0:1], off offset:168
	s_nop 0
	global_load_dwordx2 v[8:9], v[0:1], off offset:200
	s_waitcnt vmcnt(0)
	v_add_f64 v[6:7], v[6:7], v[8:9]
	global_store_dwordx2 v[2:3], v[6:7], off offset:72
	global_load_dwordx2 v[6:7], v[0:1], off offset:176
	s_nop 0
	global_load_dwordx2 v[8:9], v[0:1], off offset:208
	s_waitcnt vmcnt(0)
	v_add_f64 v[6:7], v[6:7], v[8:9]
	global_store_dwordx2 v[2:3], v[6:7], off offset:80
	global_load_dwordx2 v[6:7], v[0:1], off offset:184
	s_nop 0
	global_load_dwordx2 v[8:9], v[0:1], off offset:216
	s_waitcnt vmcnt(0)
	v_add_f64 v[6:7], v[6:7], v[8:9]
	global_store_dwordx2 v[2:3], v[6:7], off offset:88
.LBB5_7:
	;; [unrolled: 31-line block ×6, first 2 shown]
	s_or_b64 exec, exec, s[0:1]
	v_or_b32_e32 v4, 7, v4
	v_cmp_gt_u64_e32 vcc, s[12:13], v[4:5]
	s_and_b64 exec, exec, vcc
	s_cbranch_execz .LBB5_17
; %bb.16:
	global_load_dwordx2 v[4:5], v[0:1], off offset:480
	global_load_dwordx2 v[6:7], v[0:1], off offset:512
	s_waitcnt vmcnt(0)
	v_add_f64 v[4:5], v[4:5], v[6:7]
	global_store_dwordx2 v[2:3], v[4:5], off offset:224
	global_load_dwordx2 v[4:5], v[0:1], off offset:488
	s_nop 0
	global_load_dwordx2 v[6:7], v[0:1], off offset:520
	s_waitcnt vmcnt(0)
	v_add_f64 v[4:5], v[4:5], v[6:7]
	global_store_dwordx2 v[2:3], v[4:5], off offset:232
	global_load_dwordx2 v[4:5], v[0:1], off offset:496
	s_nop 0
	;; [unrolled: 6-line block ×3, first 2 shown]
	global_load_dwordx2 v[6:7], v[0:1], off offset:536
	s_waitcnt vmcnt(0)
	v_add_f64 v[0:1], v[4:5], v[6:7]
	global_store_dwordx2 v[2:3], v[0:1], off offset:248
.LBB5_17:
	s_endpgm
	.section	.rodata,"a",@progbits
	.p2align	6, 0x0
	.amdhsa_kernel _ZN4RAJA6policy3hip4impl18forallp_hip_kernelINS1_8hip_execINS_17iteration_mapping6DirectENS_3hip11IndexGlobalILNS_9named_dimE0ELi64ELi0EEENS7_40AvoidDeviceMaxThreadOccupancyConcretizerINS7_34FractionOffsetOccupancyConcretizerINS_8FractionImLm1ELm1EEELln1EEEEELb1EEENS_9Iterators16numeric_iteratorIllPlEEZN8rajaperf4apps12INTSC_HEXHEX17runHipVariantImplILm64EEEvNSM_9VariantIDEEUllE2_lNS_4expt15ForallParamPackIJEEES6_SA_TnNSt9enable_ifIXaasr3std10is_base_ofINS5_10DirectBaseET4_EE5valuegtsrT5_10block_sizeLi0EEmE4typeELm64EEEvT1_T0_T2_T3_
		.amdhsa_group_segment_fixed_size 0
		.amdhsa_private_segment_fixed_size 0
		.amdhsa_kernarg_size 44
		.amdhsa_user_sgpr_count 6
		.amdhsa_user_sgpr_private_segment_buffer 1
		.amdhsa_user_sgpr_dispatch_ptr 0
		.amdhsa_user_sgpr_queue_ptr 0
		.amdhsa_user_sgpr_kernarg_segment_ptr 1
		.amdhsa_user_sgpr_dispatch_id 0
		.amdhsa_user_sgpr_flat_scratch_init 0
		.amdhsa_user_sgpr_private_segment_size 0
		.amdhsa_uses_dynamic_stack 0
		.amdhsa_system_sgpr_private_segment_wavefront_offset 0
		.amdhsa_system_sgpr_workgroup_id_x 1
		.amdhsa_system_sgpr_workgroup_id_y 0
		.amdhsa_system_sgpr_workgroup_id_z 0
		.amdhsa_system_sgpr_workgroup_info 0
		.amdhsa_system_vgpr_workitem_id 0
		.amdhsa_next_free_vgpr 10
		.amdhsa_next_free_sgpr 16
		.amdhsa_reserve_vcc 1
		.amdhsa_reserve_flat_scratch 0
		.amdhsa_float_round_mode_32 0
		.amdhsa_float_round_mode_16_64 0
		.amdhsa_float_denorm_mode_32 3
		.amdhsa_float_denorm_mode_16_64 3
		.amdhsa_dx10_clamp 1
		.amdhsa_ieee_mode 1
		.amdhsa_fp16_overflow 0
		.amdhsa_exception_fp_ieee_invalid_op 0
		.amdhsa_exception_fp_denorm_src 0
		.amdhsa_exception_fp_ieee_div_zero 0
		.amdhsa_exception_fp_ieee_overflow 0
		.amdhsa_exception_fp_ieee_underflow 0
		.amdhsa_exception_fp_ieee_inexact 0
		.amdhsa_exception_int_div_zero 0
	.end_amdhsa_kernel
	.section	.text._ZN4RAJA6policy3hip4impl18forallp_hip_kernelINS1_8hip_execINS_17iteration_mapping6DirectENS_3hip11IndexGlobalILNS_9named_dimE0ELi64ELi0EEENS7_40AvoidDeviceMaxThreadOccupancyConcretizerINS7_34FractionOffsetOccupancyConcretizerINS_8FractionImLm1ELm1EEELln1EEEEELb1EEENS_9Iterators16numeric_iteratorIllPlEEZN8rajaperf4apps12INTSC_HEXHEX17runHipVariantImplILm64EEEvNSM_9VariantIDEEUllE2_lNS_4expt15ForallParamPackIJEEES6_SA_TnNSt9enable_ifIXaasr3std10is_base_ofINS5_10DirectBaseET4_EE5valuegtsrT5_10block_sizeLi0EEmE4typeELm64EEEvT1_T0_T2_T3_,"axG",@progbits,_ZN4RAJA6policy3hip4impl18forallp_hip_kernelINS1_8hip_execINS_17iteration_mapping6DirectENS_3hip11IndexGlobalILNS_9named_dimE0ELi64ELi0EEENS7_40AvoidDeviceMaxThreadOccupancyConcretizerINS7_34FractionOffsetOccupancyConcretizerINS_8FractionImLm1ELm1EEELln1EEEEELb1EEENS_9Iterators16numeric_iteratorIllPlEEZN8rajaperf4apps12INTSC_HEXHEX17runHipVariantImplILm64EEEvNSM_9VariantIDEEUllE2_lNS_4expt15ForallParamPackIJEEES6_SA_TnNSt9enable_ifIXaasr3std10is_base_ofINS5_10DirectBaseET4_EE5valuegtsrT5_10block_sizeLi0EEmE4typeELm64EEEvT1_T0_T2_T3_,comdat
.Lfunc_end5:
	.size	_ZN4RAJA6policy3hip4impl18forallp_hip_kernelINS1_8hip_execINS_17iteration_mapping6DirectENS_3hip11IndexGlobalILNS_9named_dimE0ELi64ELi0EEENS7_40AvoidDeviceMaxThreadOccupancyConcretizerINS7_34FractionOffsetOccupancyConcretizerINS_8FractionImLm1ELm1EEELln1EEEEELb1EEENS_9Iterators16numeric_iteratorIllPlEEZN8rajaperf4apps12INTSC_HEXHEX17runHipVariantImplILm64EEEvNSM_9VariantIDEEUllE2_lNS_4expt15ForallParamPackIJEEES6_SA_TnNSt9enable_ifIXaasr3std10is_base_ofINS5_10DirectBaseET4_EE5valuegtsrT5_10block_sizeLi0EEmE4typeELm64EEEvT1_T0_T2_T3_, .Lfunc_end5-_ZN4RAJA6policy3hip4impl18forallp_hip_kernelINS1_8hip_execINS_17iteration_mapping6DirectENS_3hip11IndexGlobalILNS_9named_dimE0ELi64ELi0EEENS7_40AvoidDeviceMaxThreadOccupancyConcretizerINS7_34FractionOffsetOccupancyConcretizerINS_8FractionImLm1ELm1EEELln1EEEEELb1EEENS_9Iterators16numeric_iteratorIllPlEEZN8rajaperf4apps12INTSC_HEXHEX17runHipVariantImplILm64EEEvNSM_9VariantIDEEUllE2_lNS_4expt15ForallParamPackIJEEES6_SA_TnNSt9enable_ifIXaasr3std10is_base_ofINS5_10DirectBaseET4_EE5valuegtsrT5_10block_sizeLi0EEmE4typeELm64EEEvT1_T0_T2_T3_
                                        ; -- End function
	.set _ZN4RAJA6policy3hip4impl18forallp_hip_kernelINS1_8hip_execINS_17iteration_mapping6DirectENS_3hip11IndexGlobalILNS_9named_dimE0ELi64ELi0EEENS7_40AvoidDeviceMaxThreadOccupancyConcretizerINS7_34FractionOffsetOccupancyConcretizerINS_8FractionImLm1ELm1EEELln1EEEEELb1EEENS_9Iterators16numeric_iteratorIllPlEEZN8rajaperf4apps12INTSC_HEXHEX17runHipVariantImplILm64EEEvNSM_9VariantIDEEUllE2_lNS_4expt15ForallParamPackIJEEES6_SA_TnNSt9enable_ifIXaasr3std10is_base_ofINS5_10DirectBaseET4_EE5valuegtsrT5_10block_sizeLi0EEmE4typeELm64EEEvT1_T0_T2_T3_.num_vgpr, 10
	.set _ZN4RAJA6policy3hip4impl18forallp_hip_kernelINS1_8hip_execINS_17iteration_mapping6DirectENS_3hip11IndexGlobalILNS_9named_dimE0ELi64ELi0EEENS7_40AvoidDeviceMaxThreadOccupancyConcretizerINS7_34FractionOffsetOccupancyConcretizerINS_8FractionImLm1ELm1EEELln1EEEEELb1EEENS_9Iterators16numeric_iteratorIllPlEEZN8rajaperf4apps12INTSC_HEXHEX17runHipVariantImplILm64EEEvNSM_9VariantIDEEUllE2_lNS_4expt15ForallParamPackIJEEES6_SA_TnNSt9enable_ifIXaasr3std10is_base_ofINS5_10DirectBaseET4_EE5valuegtsrT5_10block_sizeLi0EEmE4typeELm64EEEvT1_T0_T2_T3_.num_agpr, 0
	.set _ZN4RAJA6policy3hip4impl18forallp_hip_kernelINS1_8hip_execINS_17iteration_mapping6DirectENS_3hip11IndexGlobalILNS_9named_dimE0ELi64ELi0EEENS7_40AvoidDeviceMaxThreadOccupancyConcretizerINS7_34FractionOffsetOccupancyConcretizerINS_8FractionImLm1ELm1EEELln1EEEEELb1EEENS_9Iterators16numeric_iteratorIllPlEEZN8rajaperf4apps12INTSC_HEXHEX17runHipVariantImplILm64EEEvNSM_9VariantIDEEUllE2_lNS_4expt15ForallParamPackIJEEES6_SA_TnNSt9enable_ifIXaasr3std10is_base_ofINS5_10DirectBaseET4_EE5valuegtsrT5_10block_sizeLi0EEmE4typeELm64EEEvT1_T0_T2_T3_.numbered_sgpr, 16
	.set _ZN4RAJA6policy3hip4impl18forallp_hip_kernelINS1_8hip_execINS_17iteration_mapping6DirectENS_3hip11IndexGlobalILNS_9named_dimE0ELi64ELi0EEENS7_40AvoidDeviceMaxThreadOccupancyConcretizerINS7_34FractionOffsetOccupancyConcretizerINS_8FractionImLm1ELm1EEELln1EEEEELb1EEENS_9Iterators16numeric_iteratorIllPlEEZN8rajaperf4apps12INTSC_HEXHEX17runHipVariantImplILm64EEEvNSM_9VariantIDEEUllE2_lNS_4expt15ForallParamPackIJEEES6_SA_TnNSt9enable_ifIXaasr3std10is_base_ofINS5_10DirectBaseET4_EE5valuegtsrT5_10block_sizeLi0EEmE4typeELm64EEEvT1_T0_T2_T3_.num_named_barrier, 0
	.set _ZN4RAJA6policy3hip4impl18forallp_hip_kernelINS1_8hip_execINS_17iteration_mapping6DirectENS_3hip11IndexGlobalILNS_9named_dimE0ELi64ELi0EEENS7_40AvoidDeviceMaxThreadOccupancyConcretizerINS7_34FractionOffsetOccupancyConcretizerINS_8FractionImLm1ELm1EEELln1EEEEELb1EEENS_9Iterators16numeric_iteratorIllPlEEZN8rajaperf4apps12INTSC_HEXHEX17runHipVariantImplILm64EEEvNSM_9VariantIDEEUllE2_lNS_4expt15ForallParamPackIJEEES6_SA_TnNSt9enable_ifIXaasr3std10is_base_ofINS5_10DirectBaseET4_EE5valuegtsrT5_10block_sizeLi0EEmE4typeELm64EEEvT1_T0_T2_T3_.private_seg_size, 0
	.set _ZN4RAJA6policy3hip4impl18forallp_hip_kernelINS1_8hip_execINS_17iteration_mapping6DirectENS_3hip11IndexGlobalILNS_9named_dimE0ELi64ELi0EEENS7_40AvoidDeviceMaxThreadOccupancyConcretizerINS7_34FractionOffsetOccupancyConcretizerINS_8FractionImLm1ELm1EEELln1EEEEELb1EEENS_9Iterators16numeric_iteratorIllPlEEZN8rajaperf4apps12INTSC_HEXHEX17runHipVariantImplILm64EEEvNSM_9VariantIDEEUllE2_lNS_4expt15ForallParamPackIJEEES6_SA_TnNSt9enable_ifIXaasr3std10is_base_ofINS5_10DirectBaseET4_EE5valuegtsrT5_10block_sizeLi0EEmE4typeELm64EEEvT1_T0_T2_T3_.uses_vcc, 1
	.set _ZN4RAJA6policy3hip4impl18forallp_hip_kernelINS1_8hip_execINS_17iteration_mapping6DirectENS_3hip11IndexGlobalILNS_9named_dimE0ELi64ELi0EEENS7_40AvoidDeviceMaxThreadOccupancyConcretizerINS7_34FractionOffsetOccupancyConcretizerINS_8FractionImLm1ELm1EEELln1EEEEELb1EEENS_9Iterators16numeric_iteratorIllPlEEZN8rajaperf4apps12INTSC_HEXHEX17runHipVariantImplILm64EEEvNSM_9VariantIDEEUllE2_lNS_4expt15ForallParamPackIJEEES6_SA_TnNSt9enable_ifIXaasr3std10is_base_ofINS5_10DirectBaseET4_EE5valuegtsrT5_10block_sizeLi0EEmE4typeELm64EEEvT1_T0_T2_T3_.uses_flat_scratch, 0
	.set _ZN4RAJA6policy3hip4impl18forallp_hip_kernelINS1_8hip_execINS_17iteration_mapping6DirectENS_3hip11IndexGlobalILNS_9named_dimE0ELi64ELi0EEENS7_40AvoidDeviceMaxThreadOccupancyConcretizerINS7_34FractionOffsetOccupancyConcretizerINS_8FractionImLm1ELm1EEELln1EEEEELb1EEENS_9Iterators16numeric_iteratorIllPlEEZN8rajaperf4apps12INTSC_HEXHEX17runHipVariantImplILm64EEEvNSM_9VariantIDEEUllE2_lNS_4expt15ForallParamPackIJEEES6_SA_TnNSt9enable_ifIXaasr3std10is_base_ofINS5_10DirectBaseET4_EE5valuegtsrT5_10block_sizeLi0EEmE4typeELm64EEEvT1_T0_T2_T3_.has_dyn_sized_stack, 0
	.set _ZN4RAJA6policy3hip4impl18forallp_hip_kernelINS1_8hip_execINS_17iteration_mapping6DirectENS_3hip11IndexGlobalILNS_9named_dimE0ELi64ELi0EEENS7_40AvoidDeviceMaxThreadOccupancyConcretizerINS7_34FractionOffsetOccupancyConcretizerINS_8FractionImLm1ELm1EEELln1EEEEELb1EEENS_9Iterators16numeric_iteratorIllPlEEZN8rajaperf4apps12INTSC_HEXHEX17runHipVariantImplILm64EEEvNSM_9VariantIDEEUllE2_lNS_4expt15ForallParamPackIJEEES6_SA_TnNSt9enable_ifIXaasr3std10is_base_ofINS5_10DirectBaseET4_EE5valuegtsrT5_10block_sizeLi0EEmE4typeELm64EEEvT1_T0_T2_T3_.has_recursion, 0
	.set _ZN4RAJA6policy3hip4impl18forallp_hip_kernelINS1_8hip_execINS_17iteration_mapping6DirectENS_3hip11IndexGlobalILNS_9named_dimE0ELi64ELi0EEENS7_40AvoidDeviceMaxThreadOccupancyConcretizerINS7_34FractionOffsetOccupancyConcretizerINS_8FractionImLm1ELm1EEELln1EEEEELb1EEENS_9Iterators16numeric_iteratorIllPlEEZN8rajaperf4apps12INTSC_HEXHEX17runHipVariantImplILm64EEEvNSM_9VariantIDEEUllE2_lNS_4expt15ForallParamPackIJEEES6_SA_TnNSt9enable_ifIXaasr3std10is_base_ofINS5_10DirectBaseET4_EE5valuegtsrT5_10block_sizeLi0EEmE4typeELm64EEEvT1_T0_T2_T3_.has_indirect_call, 0
	.section	.AMDGPU.csdata,"",@progbits
; Kernel info:
; codeLenInByte = 1552
; TotalNumSgprs: 20
; NumVgprs: 10
; ScratchSize: 0
; MemoryBound: 1
; FloatMode: 240
; IeeeMode: 1
; LDSByteSize: 0 bytes/workgroup (compile time only)
; SGPRBlocks: 2
; VGPRBlocks: 2
; NumSGPRsForWavesPerEU: 20
; NumVGPRsForWavesPerEU: 10
; Occupancy: 10
; WaveLimiterHint : 1
; COMPUTE_PGM_RSRC2:SCRATCH_EN: 0
; COMPUTE_PGM_RSRC2:USER_SGPR: 6
; COMPUTE_PGM_RSRC2:TRAP_HANDLER: 0
; COMPUTE_PGM_RSRC2:TGID_X_EN: 1
; COMPUTE_PGM_RSRC2:TGID_Y_EN: 0
; COMPUTE_PGM_RSRC2:TGID_Z_EN: 0
; COMPUTE_PGM_RSRC2:TIDIG_COMP_CNT: 0
	.section	.AMDGPU.gpr_maximums,"",@progbits
	.set amdgpu.max_num_vgpr, 0
	.set amdgpu.max_num_agpr, 0
	.set amdgpu.max_num_sgpr, 0
	.section	.AMDGPU.csdata,"",@progbits
	.type	__const._ZN8rajaperf14hex_intsc_subzEPKdS1_iiRdS2_S2_S2_.cyc_nod,@object ; @__const._ZN8rajaperf14hex_intsc_subzEPKdS1_iiRdS2_S2_S2_.cyc_nod
	.section	.rodata,"a",@progbits
	.p2align	4, 0x0
__const._ZN8rajaperf14hex_intsc_subzEPKdS1_iiRdS2_S2_S2_.cyc_nod:
	.long	1                               ; 0x1
	.long	5                               ; 0x5
	;; [unrolled: 1-line block ×7, first 2 shown]
	.size	__const._ZN8rajaperf14hex_intsc_subzEPKdS1_iiRdS2_S2_S2_.cyc_nod, 28

	.type	__const._ZN8rajaperf14hex_intsc_subzEPKdS1_iiRdS2_S2_S2_.vert_cyc,@object ; @__const._ZN8rajaperf14hex_intsc_subzEPKdS1_iiRdS2_S2_S2_.vert_cyc
	.p2align	4, 0x0
__const._ZN8rajaperf14hex_intsc_subzEPKdS1_iiRdS2_S2_S2_.vert_cyc:
	.long	1                               ; 0x1
	.long	3                               ; 0x3
	;; [unrolled: 1-line block ×6, first 2 shown]
	.size	__const._ZN8rajaperf14hex_intsc_subzEPKdS1_iiRdS2_S2_S2_.vert_cyc, 24

	.type	__hip_cuid_31aa0205dc33b104,@object ; @__hip_cuid_31aa0205dc33b104
	.section	.bss,"aw",@nobits
	.globl	__hip_cuid_31aa0205dc33b104
__hip_cuid_31aa0205dc33b104:
	.byte	0                               ; 0x0
	.size	__hip_cuid_31aa0205dc33b104, 1

	.ident	"AMD clang version 22.0.0git (https://github.com/RadeonOpenCompute/llvm-project roc-7.2.4 26084 f58b06dce1f9c15707c5f808fd002e18c2accf7e)"
	.section	".note.GNU-stack","",@progbits
	.addrsig
	.addrsig_sym __hip_cuid_31aa0205dc33b104
	.amdgpu_metadata
---
amdhsa.kernels:
  - .args:
      - .address_space:  global
        .offset:         0
        .size:           8
        .value_kind:     global_buffer
      - .address_space:  global
        .offset:         8
        .size:           8
        .value_kind:     global_buffer
      - .offset:         16
        .size:           8
        .value_kind:     by_value
      - .address_space:  global
        .offset:         24
        .size:           8
        .value_kind:     global_buffer
    .group_segment_fixed_size: 128
    .kernarg_segment_align: 8
    .kernarg_segment_size: 32
    .language:       OpenCL C
    .language_version:
      - 2
      - 0
    .max_flat_workgroup_size: 64
    .name:           _ZN8rajaperf4apps16intsc_hexhex_hipILm64EEEvPdS2_mS2_
    .private_segment_fixed_size: 384
    .sgpr_count:     70
    .sgpr_spill_count: 0
    .symbol:         _ZN8rajaperf4apps16intsc_hexhex_hipILm64EEEvPdS2_mS2_.kd
    .uniform_work_group_size: 1
    .uses_dynamic_stack: false
    .vgpr_count:     84
    .vgpr_spill_count: 30
    .wavefront_size: 64
  - .args:
      - .address_space:  global
        .offset:         0
        .size:           8
        .value_kind:     global_buffer
      - .offset:         8
        .size:           8
        .value_kind:     by_value
      - .address_space:  global
        .offset:         16
        .size:           8
        .value_kind:     global_buffer
    .group_segment_fixed_size: 0
    .kernarg_segment_align: 8
    .kernarg_segment_size: 24
    .language:       OpenCL C
    .language_version:
      - 2
      - 0
    .max_flat_workgroup_size: 1024
    .name:           _ZN8rajaperf4apps32intsc_hexhex_hip_fixup_vv_64to72ILm64EEEvPdmS2_
    .private_segment_fixed_size: 0
    .sgpr_count:     14
    .sgpr_spill_count: 0
    .symbol:         _ZN8rajaperf4apps32intsc_hexhex_hip_fixup_vv_64to72ILm64EEEvPdmS2_.kd
    .uniform_work_group_size: 1
    .uses_dynamic_stack: false
    .vgpr_count:     10
    .vgpr_spill_count: 0
    .wavefront_size: 64
  - .args:
      - .offset:         0
        .size:           8
        .value_kind:     by_value
      - .offset:         8
        .size:           8
        .value_kind:     by_value
      - .offset:         16
        .size:           32
        .value_kind:     by_value
    .group_segment_fixed_size: 128
    .kernarg_segment_align: 8
    .kernarg_segment_size: 48
    .language:       OpenCL C
    .language_version:
      - 2
      - 0
    .max_flat_workgroup_size: 64
    .name:           _ZN8rajaperf17lambda_hip_forallILm64EZNS_4apps12INTSC_HEXHEX17runHipVariantImplILm64EEEvNS_9VariantIDEEUllE_EEvllT0_
    .private_segment_fixed_size: 112
    .sgpr_count:     104
    .sgpr_spill_count: 0
    .symbol:         _ZN8rajaperf17lambda_hip_forallILm64EZNS_4apps12INTSC_HEXHEX17runHipVariantImplILm64EEEvNS_9VariantIDEEUllE_EEvllT0_.kd
    .uniform_work_group_size: 1
    .uses_dynamic_stack: false
    .vgpr_count:     157
    .vgpr_spill_count: 0
    .wavefront_size: 64
  - .args:
      - .offset:         0
        .size:           8
        .value_kind:     by_value
      - .offset:         8
        .size:           8
        .value_kind:     by_value
      - .offset:         16
        .size:           24
        .value_kind:     by_value
    .group_segment_fixed_size: 0
    .kernarg_segment_align: 8
    .kernarg_segment_size: 40
    .language:       OpenCL C
    .language_version:
      - 2
      - 0
    .max_flat_workgroup_size: 64
    .name:           _ZN8rajaperf17lambda_hip_forallILm64EZNS_4apps12INTSC_HEXHEX17runHipVariantImplILm64EEEvNS_9VariantIDEEUllE0_EEvllT0_
    .private_segment_fixed_size: 0
    .sgpr_count:     16
    .sgpr_spill_count: 0
    .symbol:         _ZN8rajaperf17lambda_hip_forallILm64EZNS_4apps12INTSC_HEXHEX17runHipVariantImplILm64EEEvNS_9VariantIDEEUllE0_EEvllT0_.kd
    .uniform_work_group_size: 1
    .uses_dynamic_stack: false
    .vgpr_count:     11
    .vgpr_spill_count: 0
    .wavefront_size: 64
  - .args:
      - .offset:         0
        .size:           32
        .value_kind:     by_value
      - .offset:         32
        .size:           8
        .value_kind:     by_value
      - .offset:         40
        .size:           8
        .value_kind:     by_value
      - .offset:         48
        .size:           1
        .value_kind:     by_value
    .group_segment_fixed_size: 128
    .kernarg_segment_align: 8
    .kernarg_segment_size: 52
    .language:       OpenCL C
    .language_version:
      - 2
      - 0
    .max_flat_workgroup_size: 64
    .name:           _ZN4RAJA6policy3hip4impl18forallp_hip_kernelINS1_8hip_execINS_17iteration_mapping6DirectENS_3hip11IndexGlobalILNS_9named_dimE0ELi64ELi0EEENS7_40AvoidDeviceMaxThreadOccupancyConcretizerINS7_34FractionOffsetOccupancyConcretizerINS_8FractionImLm1ELm1EEELln1EEEEELb1EEENS_9Iterators16numeric_iteratorIllPlEEZN8rajaperf4apps12INTSC_HEXHEX17runHipVariantImplILm64EEEvNSM_9VariantIDEEUllE1_lNS_4expt15ForallParamPackIJEEES6_SA_TnNSt9enable_ifIXaasr3std10is_base_ofINS5_10DirectBaseET4_EE5valuegtsrT5_10block_sizeLi0EEmE4typeELm64EEEvT1_T0_T2_T3_
    .private_segment_fixed_size: 112
    .sgpr_count:     104
    .sgpr_spill_count: 0
    .symbol:         _ZN4RAJA6policy3hip4impl18forallp_hip_kernelINS1_8hip_execINS_17iteration_mapping6DirectENS_3hip11IndexGlobalILNS_9named_dimE0ELi64ELi0EEENS7_40AvoidDeviceMaxThreadOccupancyConcretizerINS7_34FractionOffsetOccupancyConcretizerINS_8FractionImLm1ELm1EEELln1EEEEELb1EEENS_9Iterators16numeric_iteratorIllPlEEZN8rajaperf4apps12INTSC_HEXHEX17runHipVariantImplILm64EEEvNSM_9VariantIDEEUllE1_lNS_4expt15ForallParamPackIJEEES6_SA_TnNSt9enable_ifIXaasr3std10is_base_ofINS5_10DirectBaseET4_EE5valuegtsrT5_10block_sizeLi0EEmE4typeELm64EEEvT1_T0_T2_T3_.kd
    .uniform_work_group_size: 1
    .uses_dynamic_stack: false
    .vgpr_count:     157
    .vgpr_spill_count: 0
    .wavefront_size: 64
  - .args:
      - .offset:         0
        .size:           24
        .value_kind:     by_value
      - .offset:         24
        .size:           8
        .value_kind:     by_value
      - .offset:         32
        .size:           8
        .value_kind:     by_value
      - .offset:         40
        .size:           1
        .value_kind:     by_value
    .group_segment_fixed_size: 0
    .kernarg_segment_align: 8
    .kernarg_segment_size: 44
    .language:       OpenCL C
    .language_version:
      - 2
      - 0
    .max_flat_workgroup_size: 64
    .name:           _ZN4RAJA6policy3hip4impl18forallp_hip_kernelINS1_8hip_execINS_17iteration_mapping6DirectENS_3hip11IndexGlobalILNS_9named_dimE0ELi64ELi0EEENS7_40AvoidDeviceMaxThreadOccupancyConcretizerINS7_34FractionOffsetOccupancyConcretizerINS_8FractionImLm1ELm1EEELln1EEEEELb1EEENS_9Iterators16numeric_iteratorIllPlEEZN8rajaperf4apps12INTSC_HEXHEX17runHipVariantImplILm64EEEvNSM_9VariantIDEEUllE2_lNS_4expt15ForallParamPackIJEEES6_SA_TnNSt9enable_ifIXaasr3std10is_base_ofINS5_10DirectBaseET4_EE5valuegtsrT5_10block_sizeLi0EEmE4typeELm64EEEvT1_T0_T2_T3_
    .private_segment_fixed_size: 0
    .sgpr_count:     20
    .sgpr_spill_count: 0
    .symbol:         _ZN4RAJA6policy3hip4impl18forallp_hip_kernelINS1_8hip_execINS_17iteration_mapping6DirectENS_3hip11IndexGlobalILNS_9named_dimE0ELi64ELi0EEENS7_40AvoidDeviceMaxThreadOccupancyConcretizerINS7_34FractionOffsetOccupancyConcretizerINS_8FractionImLm1ELm1EEELln1EEEEELb1EEENS_9Iterators16numeric_iteratorIllPlEEZN8rajaperf4apps12INTSC_HEXHEX17runHipVariantImplILm64EEEvNSM_9VariantIDEEUllE2_lNS_4expt15ForallParamPackIJEEES6_SA_TnNSt9enable_ifIXaasr3std10is_base_ofINS5_10DirectBaseET4_EE5valuegtsrT5_10block_sizeLi0EEmE4typeELm64EEEvT1_T0_T2_T3_.kd
    .uniform_work_group_size: 1
    .uses_dynamic_stack: false
    .vgpr_count:     10
    .vgpr_spill_count: 0
    .wavefront_size: 64
amdhsa.target:   amdgcn-amd-amdhsa--gfx906
amdhsa.version:
  - 1
  - 2
...

	.end_amdgpu_metadata
